;; amdgpu-corpus repo=ROCm/rocFFT kind=compiled arch=gfx906 opt=O3
	.text
	.amdgcn_target "amdgcn-amd-amdhsa--gfx906"
	.amdhsa_code_object_version 6
	.protected	fft_rtc_fwd_len2250_factors_10_3_5_3_5_wgs_90_tpt_90_halfLds_sp_ip_CI_sbrr_dirReg ; -- Begin function fft_rtc_fwd_len2250_factors_10_3_5_3_5_wgs_90_tpt_90_halfLds_sp_ip_CI_sbrr_dirReg
	.globl	fft_rtc_fwd_len2250_factors_10_3_5_3_5_wgs_90_tpt_90_halfLds_sp_ip_CI_sbrr_dirReg
	.p2align	8
	.type	fft_rtc_fwd_len2250_factors_10_3_5_3_5_wgs_90_tpt_90_halfLds_sp_ip_CI_sbrr_dirReg,@function
fft_rtc_fwd_len2250_factors_10_3_5_3_5_wgs_90_tpt_90_halfLds_sp_ip_CI_sbrr_dirReg: ; @fft_rtc_fwd_len2250_factors_10_3_5_3_5_wgs_90_tpt_90_halfLds_sp_ip_CI_sbrr_dirReg
; %bb.0:
	s_load_dwordx2 s[2:3], s[4:5], 0x18
	s_load_dwordx4 s[8:11], s[4:5], 0x0
	s_load_dwordx2 s[14:15], s[4:5], 0x50
	v_mul_u32_u24_e32 v1, 0x2d9, v0
	v_add_u32_sdwa v5, s6, v1 dst_sel:DWORD dst_unused:UNUSED_PAD src0_sel:DWORD src1_sel:WORD_1
	s_waitcnt lgkmcnt(0)
	s_load_dwordx2 s[12:13], s[2:3], 0x0
	v_cmp_lt_u64_e64 s[0:1], s[10:11], 2
	v_mov_b32_e32 v3, 0
	v_mov_b32_e32 v1, 0
	;; [unrolled: 1-line block ×3, first 2 shown]
	s_and_b64 vcc, exec, s[0:1]
	v_mov_b32_e32 v2, 0
	s_cbranch_vccnz .LBB0_8
; %bb.1:
	s_load_dwordx2 s[0:1], s[4:5], 0x10
	s_add_u32 s6, s2, 8
	s_addc_u32 s7, s3, 0
	v_mov_b32_e32 v1, 0
	v_mov_b32_e32 v2, 0
	s_waitcnt lgkmcnt(0)
	s_add_u32 s16, s0, 8
	s_addc_u32 s17, s1, 0
	s_mov_b64 s[18:19], 1
.LBB0_2:                                ; =>This Inner Loop Header: Depth=1
	s_load_dwordx2 s[20:21], s[16:17], 0x0
                                        ; implicit-def: $vgpr7_vgpr8
	s_waitcnt lgkmcnt(0)
	v_or_b32_e32 v4, s21, v6
	v_cmp_ne_u64_e32 vcc, 0, v[3:4]
	s_and_saveexec_b64 s[0:1], vcc
	s_xor_b64 s[22:23], exec, s[0:1]
	s_cbranch_execz .LBB0_4
; %bb.3:                                ;   in Loop: Header=BB0_2 Depth=1
	v_cvt_f32_u32_e32 v4, s20
	v_cvt_f32_u32_e32 v7, s21
	s_sub_u32 s0, 0, s20
	s_subb_u32 s1, 0, s21
	v_mac_f32_e32 v4, 0x4f800000, v7
	v_rcp_f32_e32 v4, v4
	v_mul_f32_e32 v4, 0x5f7ffffc, v4
	v_mul_f32_e32 v7, 0x2f800000, v4
	v_trunc_f32_e32 v7, v7
	v_mac_f32_e32 v4, 0xcf800000, v7
	v_cvt_u32_f32_e32 v7, v7
	v_cvt_u32_f32_e32 v4, v4
	v_mul_lo_u32 v8, s0, v7
	v_mul_hi_u32 v9, s0, v4
	v_mul_lo_u32 v11, s1, v4
	v_mul_lo_u32 v10, s0, v4
	v_add_u32_e32 v8, v9, v8
	v_add_u32_e32 v8, v8, v11
	v_mul_hi_u32 v9, v4, v10
	v_mul_lo_u32 v11, v4, v8
	v_mul_hi_u32 v13, v4, v8
	v_mul_hi_u32 v12, v7, v10
	v_mul_lo_u32 v10, v7, v10
	v_mul_hi_u32 v14, v7, v8
	v_add_co_u32_e32 v9, vcc, v9, v11
	v_addc_co_u32_e32 v11, vcc, 0, v13, vcc
	v_mul_lo_u32 v8, v7, v8
	v_add_co_u32_e32 v9, vcc, v9, v10
	v_addc_co_u32_e32 v9, vcc, v11, v12, vcc
	v_addc_co_u32_e32 v10, vcc, 0, v14, vcc
	v_add_co_u32_e32 v8, vcc, v9, v8
	v_addc_co_u32_e32 v9, vcc, 0, v10, vcc
	v_add_co_u32_e32 v4, vcc, v4, v8
	v_addc_co_u32_e32 v7, vcc, v7, v9, vcc
	v_mul_lo_u32 v8, s0, v7
	v_mul_hi_u32 v9, s0, v4
	v_mul_lo_u32 v10, s1, v4
	v_mul_lo_u32 v11, s0, v4
	v_add_u32_e32 v8, v9, v8
	v_add_u32_e32 v8, v8, v10
	v_mul_lo_u32 v12, v4, v8
	v_mul_hi_u32 v13, v4, v11
	v_mul_hi_u32 v14, v4, v8
	;; [unrolled: 1-line block ×3, first 2 shown]
	v_mul_lo_u32 v11, v7, v11
	v_mul_hi_u32 v9, v7, v8
	v_add_co_u32_e32 v12, vcc, v13, v12
	v_addc_co_u32_e32 v13, vcc, 0, v14, vcc
	v_mul_lo_u32 v8, v7, v8
	v_add_co_u32_e32 v11, vcc, v12, v11
	v_addc_co_u32_e32 v10, vcc, v13, v10, vcc
	v_addc_co_u32_e32 v9, vcc, 0, v9, vcc
	v_add_co_u32_e32 v8, vcc, v10, v8
	v_addc_co_u32_e32 v9, vcc, 0, v9, vcc
	v_add_co_u32_e32 v4, vcc, v4, v8
	v_addc_co_u32_e32 v9, vcc, v7, v9, vcc
	v_mad_u64_u32 v[7:8], s[0:1], v5, v9, 0
	v_mul_hi_u32 v10, v5, v4
	v_add_co_u32_e32 v11, vcc, v10, v7
	v_addc_co_u32_e32 v12, vcc, 0, v8, vcc
	v_mad_u64_u32 v[7:8], s[0:1], v6, v4, 0
	v_mad_u64_u32 v[9:10], s[0:1], v6, v9, 0
	v_add_co_u32_e32 v4, vcc, v11, v7
	v_addc_co_u32_e32 v4, vcc, v12, v8, vcc
	v_addc_co_u32_e32 v7, vcc, 0, v10, vcc
	v_add_co_u32_e32 v4, vcc, v4, v9
	v_addc_co_u32_e32 v9, vcc, 0, v7, vcc
	v_mul_lo_u32 v10, s21, v4
	v_mul_lo_u32 v11, s20, v9
	v_mad_u64_u32 v[7:8], s[0:1], s20, v4, 0
	v_add3_u32 v8, v8, v11, v10
	v_sub_u32_e32 v10, v6, v8
	v_mov_b32_e32 v11, s21
	v_sub_co_u32_e32 v7, vcc, v5, v7
	v_subb_co_u32_e64 v10, s[0:1], v10, v11, vcc
	v_subrev_co_u32_e64 v11, s[0:1], s20, v7
	v_subbrev_co_u32_e64 v10, s[0:1], 0, v10, s[0:1]
	v_cmp_le_u32_e64 s[0:1], s21, v10
	v_cndmask_b32_e64 v12, 0, -1, s[0:1]
	v_cmp_le_u32_e64 s[0:1], s20, v11
	v_cndmask_b32_e64 v11, 0, -1, s[0:1]
	v_cmp_eq_u32_e64 s[0:1], s21, v10
	v_cndmask_b32_e64 v10, v12, v11, s[0:1]
	v_add_co_u32_e64 v11, s[0:1], 2, v4
	v_addc_co_u32_e64 v12, s[0:1], 0, v9, s[0:1]
	v_add_co_u32_e64 v13, s[0:1], 1, v4
	v_addc_co_u32_e64 v14, s[0:1], 0, v9, s[0:1]
	v_subb_co_u32_e32 v8, vcc, v6, v8, vcc
	v_cmp_ne_u32_e64 s[0:1], 0, v10
	v_cmp_le_u32_e32 vcc, s21, v8
	v_cndmask_b32_e64 v10, v14, v12, s[0:1]
	v_cndmask_b32_e64 v12, 0, -1, vcc
	v_cmp_le_u32_e32 vcc, s20, v7
	v_cndmask_b32_e64 v7, 0, -1, vcc
	v_cmp_eq_u32_e32 vcc, s21, v8
	v_cndmask_b32_e32 v7, v12, v7, vcc
	v_cmp_ne_u32_e32 vcc, 0, v7
	v_cndmask_b32_e64 v7, v13, v11, s[0:1]
	v_cndmask_b32_e32 v8, v9, v10, vcc
	v_cndmask_b32_e32 v7, v4, v7, vcc
.LBB0_4:                                ;   in Loop: Header=BB0_2 Depth=1
	s_andn2_saveexec_b64 s[0:1], s[22:23]
	s_cbranch_execz .LBB0_6
; %bb.5:                                ;   in Loop: Header=BB0_2 Depth=1
	v_cvt_f32_u32_e32 v4, s20
	s_sub_i32 s22, 0, s20
	v_rcp_iflag_f32_e32 v4, v4
	v_mul_f32_e32 v4, 0x4f7ffffe, v4
	v_cvt_u32_f32_e32 v4, v4
	v_mul_lo_u32 v7, s22, v4
	v_mul_hi_u32 v7, v4, v7
	v_add_u32_e32 v4, v4, v7
	v_mul_hi_u32 v4, v5, v4
	v_mul_lo_u32 v7, v4, s20
	v_add_u32_e32 v8, 1, v4
	v_sub_u32_e32 v7, v5, v7
	v_subrev_u32_e32 v9, s20, v7
	v_cmp_le_u32_e32 vcc, s20, v7
	v_cndmask_b32_e32 v7, v7, v9, vcc
	v_cndmask_b32_e32 v4, v4, v8, vcc
	v_add_u32_e32 v8, 1, v4
	v_cmp_le_u32_e32 vcc, s20, v7
	v_cndmask_b32_e32 v7, v4, v8, vcc
	v_mov_b32_e32 v8, v3
.LBB0_6:                                ;   in Loop: Header=BB0_2 Depth=1
	s_or_b64 exec, exec, s[0:1]
	v_mul_lo_u32 v4, v8, s20
	v_mul_lo_u32 v11, v7, s21
	v_mad_u64_u32 v[9:10], s[0:1], v7, s20, 0
	s_load_dwordx2 s[0:1], s[6:7], 0x0
	s_add_u32 s18, s18, 1
	v_add3_u32 v4, v10, v11, v4
	v_sub_co_u32_e32 v5, vcc, v5, v9
	v_subb_co_u32_e32 v4, vcc, v6, v4, vcc
	s_waitcnt lgkmcnt(0)
	v_mul_lo_u32 v4, s0, v4
	v_mul_lo_u32 v6, s1, v5
	v_mad_u64_u32 v[1:2], s[0:1], s0, v5, v[1:2]
	s_addc_u32 s19, s19, 0
	s_add_u32 s6, s6, 8
	v_add3_u32 v2, v6, v2, v4
	v_mov_b32_e32 v4, s10
	v_mov_b32_e32 v5, s11
	s_addc_u32 s7, s7, 0
	v_cmp_ge_u64_e32 vcc, s[18:19], v[4:5]
	s_add_u32 s16, s16, 8
	s_addc_u32 s17, s17, 0
	s_cbranch_vccnz .LBB0_9
; %bb.7:                                ;   in Loop: Header=BB0_2 Depth=1
	v_mov_b32_e32 v5, v7
	v_mov_b32_e32 v6, v8
	s_branch .LBB0_2
.LBB0_8:
	v_mov_b32_e32 v8, v6
	v_mov_b32_e32 v7, v5
.LBB0_9:
	s_lshl_b64 s[0:1], s[10:11], 3
	s_add_u32 s0, s2, s0
	s_addc_u32 s1, s3, s1
	s_load_dwordx2 s[2:3], s[0:1], 0x0
	s_load_dwordx2 s[6:7], s[4:5], 0x20
                                        ; implicit-def: $vgpr88
	s_waitcnt lgkmcnt(0)
	v_mad_u64_u32 v[1:2], s[0:1], s2, v7, v[1:2]
	s_mov_b32 s0, 0x2d82d83
	v_mul_lo_u32 v3, s2, v8
	v_mul_lo_u32 v4, s3, v7
	v_mul_hi_u32 v5, v0, s0
	v_cmp_gt_u64_e32 vcc, s[6:7], v[7:8]
	v_cmp_le_u64_e64 s[0:1], s[6:7], v[7:8]
	v_add3_u32 v2, v4, v2, v3
	v_mul_u32_u24_e32 v3, 0x5a, v5
	v_sub_u32_e32 v87, v0, v3
	s_and_saveexec_b64 s[2:3], s[0:1]
	s_xor_b64 s[0:1], exec, s[2:3]
; %bb.10:
	v_add_u32_e32 v88, 0x5a, v87
; %bb.11:
	s_or_saveexec_b64 s[2:3], s[0:1]
	v_lshlrev_b64 v[0:1], 3, v[1:2]
                                        ; implicit-def: $vgpr61
                                        ; implicit-def: $vgpr55
                                        ; implicit-def: $vgpr59
                                        ; implicit-def: $vgpr53
                                        ; implicit-def: $vgpr57
                                        ; implicit-def: $vgpr51
                                        ; implicit-def: $vgpr41
                                        ; implicit-def: $vgpr23
                                        ; implicit-def: $vgpr9
                                        ; implicit-def: $vgpr7
                                        ; implicit-def: $vgpr21
                                        ; implicit-def: $vgpr27
                                        ; implicit-def: $vgpr17
                                        ; implicit-def: $vgpr25
                                        ; implicit-def: $vgpr19
                                        ; implicit-def: $vgpr15
                                        ; implicit-def: $vgpr11
                                        ; implicit-def: $vgpr13
                                        ; implicit-def: $vgpr5
                                        ; implicit-def: $vgpr3
                                        ; implicit-def: $vgpr33
                                        ; implicit-def: $vgpr45
                                        ; implicit-def: $vgpr35
                                        ; implicit-def: $vgpr43
                                        ; implicit-def: $vgpr37
                                        ; implicit-def: $vgpr49
                                        ; implicit-def: $vgpr39
                                        ; implicit-def: $vgpr47
                                        ; implicit-def: $vgpr31
                                        ; implicit-def: $vgpr29
	s_xor_b64 exec, exec, s[2:3]
	s_cbranch_execz .LBB0_15
; %bb.12:
	v_mad_u64_u32 v[2:3], s[0:1], s12, v87, 0
	v_add_u32_e32 v7, 0xe1, v87
	v_mov_b32_e32 v6, s15
	v_mad_u64_u32 v[3:4], s[0:1], s13, v87, v[3:4]
	v_mad_u64_u32 v[4:5], s[0:1], s12, v7, 0
	v_add_co_u32_e64 v55, s[0:1], s14, v0
	v_addc_co_u32_e64 v61, s[0:1], v6, v1, s[0:1]
	v_mad_u64_u32 v[5:6], s[0:1], s13, v7, v[5:6]
	v_add_u32_e32 v10, 0x1c2, v87
	v_mad_u64_u32 v[6:7], s[0:1], s12, v10, 0
	v_lshlrev_b64 v[2:3], 3, v[2:3]
	v_add_u32_e32 v88, 0x5a, v87
	v_add_co_u32_e64 v8, s[0:1], v55, v2
	v_addc_co_u32_e64 v9, s[0:1], v61, v3, s[0:1]
	v_lshlrev_b64 v[2:3], 3, v[4:5]
	v_mov_b32_e32 v4, v7
	v_mad_u64_u32 v[4:5], s[0:1], s13, v10, v[4:5]
	v_add_u32_e32 v5, 0x2a3, v87
	v_mad_u64_u32 v[10:11], s[0:1], s12, v5, 0
	v_add_co_u32_e64 v16, s[0:1], v55, v2
	v_mov_b32_e32 v7, v4
	v_mov_b32_e32 v4, v11
	v_addc_co_u32_e64 v17, s[0:1], v61, v3, s[0:1]
	v_lshlrev_b64 v[2:3], 3, v[6:7]
	v_mad_u64_u32 v[4:5], s[0:1], s13, v5, v[4:5]
	v_add_u32_e32 v7, 0x384, v87
	v_mad_u64_u32 v[5:6], s[0:1], s12, v7, 0
	v_add_co_u32_e64 v18, s[0:1], v55, v2
	v_mov_b32_e32 v11, v4
	v_mov_b32_e32 v4, v6
	v_addc_co_u32_e64 v19, s[0:1], v61, v3, s[0:1]
	v_mad_u64_u32 v[6:7], s[0:1], s13, v7, v[4:5]
	v_add_u32_e32 v7, 0x465, v87
	v_lshlrev_b64 v[2:3], 3, v[10:11]
	v_mad_u64_u32 v[10:11], s[0:1], s12, v7, 0
	v_add_co_u32_e64 v20, s[0:1], v55, v2
	v_mov_b32_e32 v4, v11
	v_addc_co_u32_e64 v21, s[0:1], v61, v3, s[0:1]
	v_lshlrev_b64 v[2:3], 3, v[5:6]
	v_mad_u64_u32 v[4:5], s[0:1], s13, v7, v[4:5]
	v_add_u32_e32 v7, 0x546, v87
	v_mad_u64_u32 v[5:6], s[0:1], s12, v7, 0
	v_add_co_u32_e64 v22, s[0:1], v55, v2
	v_mov_b32_e32 v11, v4
	v_mov_b32_e32 v4, v6
	v_addc_co_u32_e64 v23, s[0:1], v61, v3, s[0:1]
	v_mad_u64_u32 v[6:7], s[0:1], s13, v7, v[4:5]
	v_add_u32_e32 v7, 0x627, v87
	v_lshlrev_b64 v[2:3], 3, v[10:11]
	v_mad_u64_u32 v[10:11], s[0:1], s12, v7, 0
	v_add_co_u32_e64 v24, s[0:1], v55, v2
	;; [unrolled: 15-line block ×3, first 2 shown]
	v_mov_b32_e32 v4, v11
	v_addc_co_u32_e64 v41, s[0:1], v61, v3, s[0:1]
	v_lshlrev_b64 v[2:3], 3, v[5:6]
	v_mad_u64_u32 v[4:5], s[0:1], s13, v7, v[4:5]
	v_mad_u64_u32 v[5:6], s[0:1], s12, v88, 0
	v_add_co_u32_e64 v50, s[0:1], v55, v2
	v_mov_b32_e32 v11, v4
	v_mov_b32_e32 v4, v6
	v_addc_co_u32_e64 v51, s[0:1], v61, v3, s[0:1]
	v_mad_u64_u32 v[6:7], s[0:1], s13, v88, v[4:5]
	v_add_u32_e32 v7, 0x13b, v87
	v_lshlrev_b64 v[2:3], 3, v[10:11]
	v_mad_u64_u32 v[10:11], s[0:1], s12, v7, 0
	v_add_co_u32_e64 v52, s[0:1], v55, v2
	v_mov_b32_e32 v4, v11
	v_addc_co_u32_e64 v53, s[0:1], v61, v3, s[0:1]
	v_lshlrev_b64 v[2:3], 3, v[5:6]
	v_mad_u64_u32 v[4:5], s[0:1], s13, v7, v[4:5]
	v_add_u32_e32 v7, 0x21c, v87
	v_mad_u64_u32 v[5:6], s[0:1], s12, v7, 0
	v_add_co_u32_e64 v56, s[0:1], v55, v2
	v_mov_b32_e32 v11, v4
	v_mov_b32_e32 v4, v6
	v_addc_co_u32_e64 v57, s[0:1], v61, v3, s[0:1]
	v_mad_u64_u32 v[6:7], s[0:1], s13, v7, v[4:5]
	v_add_u32_e32 v7, 0x2fd, v87
	v_lshlrev_b64 v[2:3], 3, v[10:11]
	v_mad_u64_u32 v[10:11], s[0:1], s12, v7, 0
	v_add_co_u32_e64 v58, s[0:1], v55, v2
	v_mov_b32_e32 v4, v11
	v_addc_co_u32_e64 v59, s[0:1], v61, v3, s[0:1]
	v_lshlrev_b64 v[2:3], 3, v[5:6]
	v_mad_u64_u32 v[4:5], s[0:1], s13, v7, v[4:5]
	v_add_u32_e32 v7, 0x3de, v87
	v_mad_u64_u32 v[5:6], s[0:1], s12, v7, 0
	v_add_co_u32_e64 v62, s[0:1], v55, v2
	v_mov_b32_e32 v11, v4
	v_mov_b32_e32 v4, v6
	v_addc_co_u32_e64 v63, s[0:1], v61, v3, s[0:1]
	v_mad_u64_u32 v[6:7], s[0:1], s13, v7, v[4:5]
	v_add_u32_e32 v7, 0x4bf, v87
	v_lshlrev_b64 v[2:3], 3, v[10:11]
	v_mad_u64_u32 v[10:11], s[0:1], s12, v7, 0
	v_add_co_u32_e64 v64, s[0:1], v55, v2
	v_mov_b32_e32 v4, v11
	v_addc_co_u32_e64 v65, s[0:1], v61, v3, s[0:1]
	v_lshlrev_b64 v[2:3], 3, v[5:6]
	v_mad_u64_u32 v[4:5], s[0:1], s13, v7, v[4:5]
	v_add_u32_e32 v7, 0x5a0, v87
	v_mad_u64_u32 v[5:6], s[0:1], s12, v7, 0
	v_add_co_u32_e64 v66, s[0:1], v55, v2
	v_mov_b32_e32 v11, v4
	v_mov_b32_e32 v4, v6
	v_addc_co_u32_e64 v67, s[0:1], v61, v3, s[0:1]
	v_mad_u64_u32 v[6:7], s[0:1], s13, v7, v[4:5]
	v_add_u32_e32 v7, 0x681, v87
	v_lshlrev_b64 v[2:3], 3, v[10:11]
	v_mad_u64_u32 v[10:11], s[0:1], s12, v7, 0
	v_add_co_u32_e64 v68, s[0:1], v55, v2
	v_mov_b32_e32 v4, v11
	v_addc_co_u32_e64 v69, s[0:1], v61, v3, s[0:1]
	v_lshlrev_b64 v[2:3], 3, v[5:6]
	v_mad_u64_u32 v[4:5], s[0:1], s13, v7, v[4:5]
	v_add_u32_e32 v7, 0x762, v87
	v_mad_u64_u32 v[5:6], s[0:1], s12, v7, 0
	v_add_co_u32_e64 v70, s[0:1], v55, v2
	v_mov_b32_e32 v11, v4
	v_mov_b32_e32 v4, v6
	v_addc_co_u32_e64 v71, s[0:1], v61, v3, s[0:1]
	v_mad_u64_u32 v[6:7], s[0:1], s13, v7, v[4:5]
	v_add_u32_e32 v7, 0x843, v87
	v_lshlrev_b64 v[2:3], 3, v[10:11]
	v_mad_u64_u32 v[10:11], s[0:1], s12, v7, 0
	v_add_co_u32_e64 v72, s[0:1], v55, v2
	v_mov_b32_e32 v4, v11
	v_addc_co_u32_e64 v73, s[0:1], v61, v3, s[0:1]
	v_lshlrev_b64 v[2:3], 3, v[5:6]
	v_mad_u64_u32 v[4:5], s[0:1], s13, v7, v[4:5]
	v_add_co_u32_e64 v6, s[0:1], v55, v2
	v_mov_b32_e32 v11, v4
	v_addc_co_u32_e64 v7, s[0:1], v61, v3, s[0:1]
	v_lshlrev_b64 v[2:3], 3, v[10:11]
                                        ; implicit-def: $vgpr54
                                        ; implicit-def: $vgpr60
	v_add_co_u32_e64 v74, s[0:1], v55, v2
	v_addc_co_u32_e64 v75, s[0:1], v61, v3, s[0:1]
	global_load_dwordx2 v[28:29], v[8:9], off
	global_load_dwordx2 v[30:31], v[16:17], off
	;; [unrolled: 1-line block ×15, first 2 shown]
                                        ; kill: killed $vgpr58 killed $vgpr59
                                        ; kill: killed $vgpr40 killed $vgpr41
                                        ; kill: killed $vgpr18 killed $vgpr19
                                        ; kill: killed $vgpr64 killed $vgpr65
                                        ; kill: killed $vgpr52 killed $vgpr53
                                        ; kill: killed $vgpr22 killed $vgpr23
                                        ; kill: killed $vgpr56 killed $vgpr57
                                        ; kill: killed $vgpr26 killed $vgpr27
                                        ; kill: killed $vgpr16 killed $vgpr17
                                        ; kill: killed $vgpr62 killed $vgpr63
                                        ; kill: killed $vgpr50 killed $vgpr51
                                        ; kill: killed $vgpr20 killed $vgpr21
                                        ; kill: killed $vgpr66 killed $vgpr67
                                        ; kill: killed $vgpr24 killed $vgpr25
                                        ; kill: killed $vgpr8 killed $vgpr9
	global_load_dwordx2 v[18:19], v[68:69], off
	global_load_dwordx2 v[24:25], v[70:71], off
	;; [unrolled: 1-line block ×5, first 2 shown]
	v_cmp_gt_u32_e64 s[0:1], 45, v87
                                        ; implicit-def: $vgpr6
                                        ; implicit-def: $vgpr8
                                        ; implicit-def: $vgpr22
                                        ; implicit-def: $vgpr40
                                        ; implicit-def: $vgpr50
                                        ; implicit-def: $vgpr56
                                        ; implicit-def: $vgpr52
                                        ; implicit-def: $vgpr58
	s_and_saveexec_b64 s[4:5], s[0:1]
	s_cbranch_execz .LBB0_14
; %bb.13:
	v_add_u32_e32 v22, 0xb4, v87
	v_add_u32_e32 v40, 0x195, v87
	v_mad_u64_u32 v[6:7], s[0:1], s12, v22, 0
	v_mad_u64_u32 v[8:9], s[0:1], s12, v40, 0
	v_add_u32_e32 v54, 0x519, v87
	v_mad_u64_u32 v[22:23], s[0:1], s13, v22, v[7:8]
	v_mov_b32_e32 v7, v22
	s_waitcnt vmcnt(6)
	v_mad_u64_u32 v[22:23], s[0:1], s13, v40, v[9:10]
	v_add_u32_e32 v23, 0x276, v87
	v_mad_u64_u32 v[40:41], s[0:1], s12, v23, 0
	v_lshlrev_b64 v[6:7], 3, v[6:7]
	v_mov_b32_e32 v9, v22
	v_add_co_u32_e64 v50, s[0:1], v55, v6
	v_addc_co_u32_e64 v51, s[0:1], v61, v7, s[0:1]
	v_lshlrev_b64 v[6:7], 3, v[8:9]
	v_mov_b32_e32 v8, v41
	v_mad_u64_u32 v[8:9], s[0:1], s13, v23, v[8:9]
	v_add_u32_e32 v9, 0x357, v87
	v_mad_u64_u32 v[22:23], s[0:1], s12, v9, 0
	v_add_co_u32_e64 v52, s[0:1], v55, v6
	v_mov_b32_e32 v41, v8
	v_mov_b32_e32 v8, v23
	v_addc_co_u32_e64 v53, s[0:1], v61, v7, s[0:1]
	v_mad_u64_u32 v[8:9], s[0:1], s13, v9, v[8:9]
	v_lshlrev_b64 v[6:7], 3, v[40:41]
	v_add_co_u32_e64 v56, s[0:1], v55, v6
	v_mov_b32_e32 v23, v8
	v_addc_co_u32_e64 v57, s[0:1], v61, v7, s[0:1]
	v_lshlrev_b64 v[6:7], 3, v[22:23]
	v_add_u32_e32 v8, 0x438, v87
	v_mad_u64_u32 v[58:59], s[0:1], s12, v8, 0
	v_add_co_u32_e64 v62, s[0:1], v55, v6
	v_addc_co_u32_e64 v63, s[0:1], v61, v7, s[0:1]
	v_mad_u64_u32 v[64:65], s[0:1], s12, v54, 0
	v_mov_b32_e32 v6, v59
	v_mad_u64_u32 v[59:60], s[0:1], s13, v8, v[6:7]
	global_load_dwordx2 v[6:7], v[50:51], off
	global_load_dwordx2 v[8:9], v[52:53], off
	;; [unrolled: 1-line block ×4, first 2 shown]
	v_mov_b32_e32 v52, v65
	v_mad_u64_u32 v[52:53], s[0:1], s13, v54, v[52:53]
	v_add_u32_e32 v56, 0x5fa, v87
	v_mad_u64_u32 v[53:54], s[0:1], s12, v56, 0
	v_lshlrev_b64 v[50:51], 3, v[58:59]
	v_mov_b32_e32 v65, v52
	v_add_co_u32_e64 v62, s[0:1], v55, v50
	v_mov_b32_e32 v52, v54
	v_addc_co_u32_e64 v63, s[0:1], v61, v51, s[0:1]
	v_mad_u64_u32 v[56:57], s[0:1], s13, v56, v[52:53]
	v_add_u32_e32 v59, 0x6db, v87
	v_mad_u64_u32 v[57:58], s[0:1], s12, v59, 0
	v_lshlrev_b64 v[50:51], 3, v[64:65]
	v_mov_b32_e32 v54, v56
	v_add_co_u32_e64 v64, s[0:1], v55, v50
	v_mov_b32_e32 v52, v58
	v_addc_co_u32_e64 v65, s[0:1], v61, v51, s[0:1]
	v_lshlrev_b64 v[50:51], 3, v[53:54]
	v_mad_u64_u32 v[52:53], s[0:1], s13, v59, v[52:53]
	v_add_co_u32_e64 v66, s[0:1], v55, v50
	v_mov_b32_e32 v58, v52
	v_add_u32_e32 v52, 0x7bc, v87
	v_addc_co_u32_e64 v67, s[0:1], v61, v51, s[0:1]
	v_mad_u64_u32 v[68:69], s[0:1], s12, v52, 0
	v_lshlrev_b64 v[50:51], 3, v[57:58]
	v_add_u32_e32 v60, 0x89d, v87
	v_add_co_u32_e64 v70, s[0:1], v55, v50
	v_mov_b32_e32 v50, v69
	v_addc_co_u32_e64 v71, s[0:1], v61, v51, s[0:1]
	v_mad_u64_u32 v[72:73], s[0:1], s13, v52, v[50:51]
	v_mad_u64_u32 v[73:74], s[0:1], s12, v60, 0
	global_load_dwordx2 v[50:51], v[62:63], off
	global_load_dwordx2 v[56:57], v[64:65], off
	;; [unrolled: 1-line block ×4, first 2 shown]
	v_mov_b32_e32 v69, v72
	v_mov_b32_e32 v54, v74
	v_mad_u64_u32 v[64:65], s[0:1], s13, v60, v[54:55]
	v_lshlrev_b64 v[62:63], 3, v[68:69]
	v_mov_b32_e32 v74, v64
	v_add_co_u32_e64 v62, s[0:1], v55, v62
	v_lshlrev_b64 v[64:65], 3, v[73:74]
	v_addc_co_u32_e64 v63, s[0:1], v61, v63, s[0:1]
	v_add_co_u32_e64 v64, s[0:1], v55, v64
	v_addc_co_u32_e64 v65, s[0:1], v61, v65, s[0:1]
	global_load_dwordx2 v[54:55], v[62:63], off
	global_load_dwordx2 v[60:61], v[64:65], off
.LBB0_14:
	s_or_b64 exec, exec, s[4:5]
.LBB0_15:
	s_or_b64 exec, exec, s[2:3]
	s_waitcnt vmcnt(13)
	v_add_f32_e32 v63, v42, v48
	v_fma_f32 v66, -0.5, v63, v28
	v_sub_f32_e32 v63, v46, v48
	s_waitcnt vmcnt(11)
	v_sub_f32_e32 v64, v44, v42
	v_add_f32_e32 v69, v64, v63
	v_add_f32_e32 v63, v44, v46
	;; [unrolled: 1-line block ×3, first 2 shown]
	v_fmac_f32_e32 v28, -0.5, v63
	v_sub_f32_e32 v63, v48, v46
	v_sub_f32_e32 v64, v42, v44
	;; [unrolled: 1-line block ×3, first 2 shown]
	v_mov_b32_e32 v70, v28
	v_add_f32_e32 v63, v64, v63
	v_add_f32_e32 v64, v34, v36
	v_sub_f32_e32 v67, v47, v45
	v_fmac_f32_e32 v70, 0xbf737871, v68
	v_fmac_f32_e32 v28, 0x3f737871, v68
	v_fma_f32 v89, -0.5, v64, v30
	v_sub_f32_e32 v64, v38, v36
	s_waitcnt vmcnt(10)
	v_sub_f32_e32 v65, v32, v34
	v_fmac_f32_e32 v70, 0x3f167918, v67
	v_fmac_f32_e32 v28, 0xbf167918, v67
	v_add_f32_e32 v71, v65, v64
	v_add_f32_e32 v64, v32, v38
	v_fmac_f32_e32 v70, 0x3e9e377a, v63
	v_fmac_f32_e32 v28, 0x3e9e377a, v63
	v_add_f32_e32 v63, v38, v30
	v_fmac_f32_e32 v30, -0.5, v64
	v_sub_f32_e32 v72, v37, v35
	v_mov_b32_e32 v90, v30
	v_sub_f32_e32 v64, v36, v38
	v_sub_f32_e32 v65, v34, v32
	v_fmac_f32_e32 v90, 0xbf737871, v72
	v_sub_f32_e32 v73, v39, v33
	v_fmac_f32_e32 v30, 0x3f737871, v72
	v_add_f32_e32 v64, v65, v64
	v_fmac_f32_e32 v90, 0x3f167918, v73
	v_fmac_f32_e32 v30, 0xbf167918, v73
	;; [unrolled: 1-line block ×4, first 2 shown]
	v_sub_f32_e32 v64, v39, v37
	v_sub_f32_e32 v65, v33, v35
	;; [unrolled: 1-line block ×3, first 2 shown]
	v_add_f32_e32 v36, v36, v63
	v_add_f32_e32 v74, v65, v64
	v_sub_f32_e32 v64, v37, v39
	v_sub_f32_e32 v65, v35, v33
	v_add_f32_e32 v34, v34, v36
	v_add_f32_e32 v64, v65, v64
	;; [unrolled: 1-line block ×3, first 2 shown]
	v_sub_f32_e32 v76, v38, v32
	v_add_f32_e32 v79, v32, v34
	v_add_f32_e32 v32, v35, v37
	v_fma_f32 v91, -0.5, v65, v31
	v_mov_b32_e32 v34, v89
	v_fma_f32 v32, -0.5, v32, v31
	v_mov_b32_e32 v92, v91
	v_fmac_f32_e32 v34, 0x3f737871, v73
	v_mov_b32_e32 v36, v32
	v_fmac_f32_e32 v92, 0x3f737871, v75
	v_fmac_f32_e32 v91, 0xbf737871, v75
	v_add_f32_e32 v38, v48, v62
	v_mov_b32_e32 v78, v66
	v_fmac_f32_e32 v34, 0x3f167918, v72
	v_fmac_f32_e32 v36, 0xbf737871, v76
	;; [unrolled: 1-line block ×4, first 2 shown]
	v_add_f32_e32 v38, v42, v38
	v_fmac_f32_e32 v78, 0x3f737871, v67
	v_fmac_f32_e32 v34, 0x3e9e377a, v71
	;; [unrolled: 1-line block ×5, first 2 shown]
	v_add_f32_e32 v77, v44, v38
	s_mov_b32 s4, 0x3f737871
	v_fmac_f32_e32 v78, 0x3f167918, v68
	v_fmac_f32_e32 v36, 0x3e9e377a, v74
	v_mul_f32_e32 v80, 0x3f4f1bbd, v34
	v_mul_f32_e32 v81, 0x3e9e377a, v90
	;; [unrolled: 1-line block ×3, first 2 shown]
	v_fmac_f32_e32 v89, 0xbf737871, v73
	v_fmac_f32_e32 v78, 0x3e9e377a, v69
	;; [unrolled: 1-line block ×4, first 2 shown]
	v_fma_f32 v82, v91, s4, -v38
	v_mul_u32_u24_e32 v38, 10, v87
	v_fmac_f32_e32 v89, 0xbf167918, v72
	v_fmac_f32_e32 v32, 0x3f737871, v76
	v_add_f32_e32 v62, v79, v77
	v_add_f32_e32 v63, v78, v80
	;; [unrolled: 1-line block ×4, first 2 shown]
	v_lshl_add_u32 v38, v38, 2, 0
	v_fmac_f32_e32 v66, 0xbf737871, v67
	v_fmac_f32_e32 v89, 0x3e9e377a, v71
	;; [unrolled: 1-line block ×3, first 2 shown]
	ds_write2_b64 v38, v[62:63], v[64:65] offset1:1
	v_fmac_f32_e32 v66, 0xbf167918, v68
	v_fmac_f32_e32 v32, 0x3e9e377a, v74
	s_mov_b32 s0, 0x3f167918
	v_mul_f32_e32 v64, 0x3f4f1bbd, v89
	v_fmac_f32_e32 v66, 0x3e9e377a, v69
	v_fma_f32 v67, v32, s0, -v64
	v_sub_f32_e32 v62, v78, v80
	v_sub_f32_e32 v63, v70, v81
	;; [unrolled: 1-line block ×3, first 2 shown]
	v_add_f32_e32 v64, v66, v67
	ds_write2_b64 v38, v[64:65], v[62:63] offset0:2 offset1:3
	v_sub_f32_e32 v63, v66, v67
	v_sub_f32_e32 v62, v28, v82
	ds_write_b64 v38, v[62:63] offset:32
	s_waitcnt vmcnt(5)
	v_sub_f32_e32 v28, v12, v14
	s_waitcnt vmcnt(1)
	v_sub_f32_e32 v62, v26, v24
	v_add_f32_e32 v66, v62, v28
	v_add_f32_e32 v28, v24, v14
	v_fma_f32 v67, -0.5, v28, v2
	v_add_f32_e32 v28, v26, v12
	v_add_f32_e32 v64, v12, v2
	v_fmac_f32_e32 v2, -0.5, v28
	v_sub_f32_e32 v68, v15, v25
	v_mov_b32_e32 v69, v2
	v_sub_f32_e32 v28, v14, v12
	v_sub_f32_e32 v62, v24, v26
	v_fmac_f32_e32 v69, 0xbf737871, v68
	v_sub_f32_e32 v70, v13, v27
	v_fmac_f32_e32 v2, 0x3f737871, v68
	v_add_f32_e32 v28, v62, v28
	v_fmac_f32_e32 v69, 0x3f167918, v70
	v_fmac_f32_e32 v2, 0xbf167918, v70
	;; [unrolled: 1-line block ×4, first 2 shown]
	v_sub_f32_e32 v28, v10, v18
	s_waitcnt vmcnt(0)
	v_sub_f32_e32 v62, v20, v16
	v_add_f32_e32 v71, v62, v28
	v_add_f32_e32 v28, v16, v18
	;; [unrolled: 1-line block ×3, first 2 shown]
	v_fma_f32 v28, -0.5, v28, v4
	v_add_f32_e32 v62, v10, v4
	v_fmac_f32_e32 v4, -0.5, v63
	v_sub_f32_e32 v72, v19, v17
	v_mov_b32_e32 v93, v4
	v_sub_f32_e32 v63, v18, v10
	v_sub_f32_e32 v65, v16, v20
	v_fmac_f32_e32 v93, 0xbf737871, v72
	v_sub_f32_e32 v73, v11, v21
	v_fmac_f32_e32 v4, 0x3f737871, v72
	v_add_f32_e32 v63, v65, v63
	v_fmac_f32_e32 v93, 0x3f167918, v73
	v_fmac_f32_e32 v4, 0xbf167918, v73
	;; [unrolled: 1-line block ×4, first 2 shown]
	v_sub_f32_e32 v63, v11, v19
	v_sub_f32_e32 v65, v21, v17
	v_add_f32_e32 v74, v65, v63
	v_sub_f32_e32 v63, v19, v11
	v_sub_f32_e32 v65, v17, v21
	v_add_f32_e32 v63, v65, v63
	v_add_f32_e32 v65, v21, v11
	v_sub_f32_e32 v75, v18, v16
	v_add_f32_e32 v18, v18, v62
	v_fma_f32 v94, -0.5, v65, v5
	v_add_f32_e32 v16, v16, v18
	v_add_f32_e32 v18, v17, v19
	v_mov_b32_e32 v95, v94
	v_mov_b32_e32 v97, v28
	v_fma_f32 v18, -0.5, v18, v5
	v_fmac_f32_e32 v95, 0x3f737871, v75
	v_sub_f32_e32 v10, v10, v20
	v_fmac_f32_e32 v94, 0xbf737871, v75
	v_fmac_f32_e32 v97, 0x3f737871, v73
	v_mov_b32_e32 v99, v18
	v_fmac_f32_e32 v95, 0xbf167918, v10
	v_fmac_f32_e32 v94, 0x3f167918, v10
	v_mov_b32_e32 v77, v67
	v_fmac_f32_e32 v97, 0x3f167918, v72
	v_fmac_f32_e32 v99, 0xbf737871, v10
	;; [unrolled: 1-line block ×5, first 2 shown]
	v_add_f32_e32 v63, v14, v64
	v_fmac_f32_e32 v77, 0x3f737871, v70
	v_fmac_f32_e32 v97, 0x3e9e377a, v71
	;; [unrolled: 1-line block ×5, first 2 shown]
	v_add_f32_e32 v63, v24, v63
	v_fmac_f32_e32 v77, 0x3f167918, v68
	v_add_f32_e32 v16, v20, v16
	v_fmac_f32_e32 v99, 0x3e9e377a, v74
	v_mul_f32_e32 v78, 0x3f4f1bbd, v97
	v_mul_f32_e32 v79, 0x3e9e377a, v93
	;; [unrolled: 1-line block ×3, first 2 shown]
	v_fmac_f32_e32 v67, 0xbf737871, v70
	v_fmac_f32_e32 v28, 0x3e9e377a, v71
	;; [unrolled: 1-line block ×3, first 2 shown]
	v_add_f32_e32 v76, v26, v63
	v_fmac_f32_e32 v77, 0x3e9e377a, v66
	v_fmac_f32_e32 v78, 0x3f167918, v99
	;; [unrolled: 1-line block ×3, first 2 shown]
	v_fma_f32 v80, v94, s4, -v20
	v_mul_i32_i24_e32 v20, 10, v88
	v_fmac_f32_e32 v67, 0xbf167918, v68
	v_fmac_f32_e32 v18, 0x3e9e377a, v74
	v_mul_f32_e32 v10, 0x3f4f1bbd, v28
	v_add_f32_e32 v62, v16, v76
	v_add_f32_e32 v63, v77, v78
	;; [unrolled: 1-line block ×4, first 2 shown]
	v_lshl_add_u32 v20, v20, 2, 0
	v_fmac_f32_e32 v67, 0x3e9e377a, v66
	v_fma_f32 v10, v18, s0, -v10
	ds_write2_b64 v20, v[62:63], v[64:65] offset1:1
	v_sub_f32_e32 v62, v77, v78
	v_sub_f32_e32 v63, v69, v79
	;; [unrolled: 1-line block ×3, first 2 shown]
	v_add_f32_e32 v64, v67, v10
	ds_write2_b64 v20, v[64:65], v[62:63] offset0:2 offset1:3
	v_sub_f32_e32 v63, v67, v10
	v_sub_f32_e32 v62, v2, v80
	;; [unrolled: 1-line block ×4, first 2 shown]
	v_add_f32_e32 v2, v10, v2
	v_add_f32_e32 v10, v52, v50
	v_fma_f32 v66, -0.5, v10, v6
	v_sub_f32_e32 v64, v23, v55
	v_mov_b32_e32 v16, v66
	v_fmac_f32_e32 v16, 0x3f737871, v64
	v_sub_f32_e32 v65, v51, v53
	v_fmac_f32_e32 v66, 0xbf737871, v64
	v_fmac_f32_e32 v16, 0x3f167918, v65
	;; [unrolled: 1-line block ×5, first 2 shown]
	v_sub_f32_e32 v2, v40, v56
	v_sub_f32_e32 v10, v60, v58
	v_add_f32_e32 v10, v10, v2
	v_add_f32_e32 v2, v58, v56
	v_fma_f32 v2, -0.5, v2, v8
	ds_write_b64 v20, v[62:63] offset:32
	v_sub_f32_e32 v62, v41, v61
	v_mov_b32_e32 v100, v2
	v_fmac_f32_e32 v100, 0x3f737871, v62
	v_sub_f32_e32 v63, v57, v59
	v_fmac_f32_e32 v2, 0xbf737871, v62
	v_fmac_f32_e32 v100, 0x3f167918, v63
	v_fmac_f32_e32 v2, 0xbf167918, v63
	v_fmac_f32_e32 v100, 0x3e9e377a, v10
	v_fmac_f32_e32 v2, 0x3e9e377a, v10
	v_add_f32_e32 v10, v60, v40
	v_add_f32_e32 v67, v40, v8
	v_fmac_f32_e32 v8, -0.5, v10
	v_sub_f32_e32 v10, v56, v40
	v_sub_f32_e32 v68, v58, v60
	v_add_f32_e32 v68, v68, v10
	v_mov_b32_e32 v10, v8
	v_fmac_f32_e32 v10, 0xbf737871, v63
	v_fmac_f32_e32 v8, 0x3f737871, v63
	;; [unrolled: 1-line block ×4, first 2 shown]
	v_sub_f32_e32 v62, v41, v57
	v_sub_f32_e32 v63, v61, v59
	v_add_f32_e32 v62, v63, v62
	v_add_f32_e32 v63, v59, v57
	v_fma_f32 v101, -0.5, v63, v9
	v_sub_f32_e32 v40, v40, v60
	v_mov_b32_e32 v102, v101
	v_fmac_f32_e32 v102, 0xbf737871, v40
	v_sub_f32_e32 v63, v56, v58
	v_fmac_f32_e32 v101, 0x3f737871, v40
	v_fmac_f32_e32 v102, 0xbf167918, v63
	;; [unrolled: 1-line block ×7, first 2 shown]
	v_sub_f32_e32 v62, v57, v41
	v_sub_f32_e32 v68, v59, v61
	v_add_f32_e32 v62, v68, v62
	v_add_f32_e32 v68, v61, v41
	v_fma_f32 v96, -0.5, v68, v9
	v_mov_b32_e32 v98, v96
	v_fmac_f32_e32 v98, 0x3f737871, v63
	v_fmac_f32_e32 v96, 0xbf737871, v63
	;; [unrolled: 1-line block ×4, first 2 shown]
	v_add_f32_e32 v40, v22, v6
	v_add_f32_e32 v56, v56, v67
	;; [unrolled: 1-line block ×6, first 2 shown]
	v_mul_f32_e32 v58, 0x3f4f1bbd, v100
	v_mul_f32_e32 v60, 0x3f4f1bbd, v2
	v_add_f32_e32 v40, v54, v40
	v_fmac_f32_e32 v58, 0x3f167918, v102
	v_fma_f32 v60, v101, s0, -v60
	v_fmac_f32_e32 v98, 0x3e9e377a, v62
	v_fmac_f32_e32 v96, 0x3e9e377a, v62
	v_add_f32_e32 v62, v66, v60
	v_sub_f32_e32 v63, v40, v56
	v_cmp_gt_u32_e64 s[2:3], 45, v87
	v_sub_f32_e32 v72, v16, v58
	s_and_saveexec_b64 s[0:1], s[2:3]
	s_cbranch_execz .LBB0_17
; %bb.16:
	v_sub_f32_e32 v67, v66, v60
	v_sub_f32_e32 v60, v50, v22
	;; [unrolled: 1-line block ×3, first 2 shown]
	v_add_f32_e32 v60, v66, v60
	v_add_f32_e32 v66, v54, v22
	v_fmac_f32_e32 v6, -0.5, v66
	v_mov_b32_e32 v68, v6
	v_fmac_f32_e32 v68, 0x3f737871, v65
	v_fmac_f32_e32 v6, 0xbf737871, v65
	;; [unrolled: 1-line block ×5, first 2 shown]
	v_mul_f32_e32 v66, 0x3e9e377a, v8
	v_fmac_f32_e32 v6, 0x3e9e377a, v60
	v_mul_f32_e32 v60, 0x3e9e377a, v10
	v_fma_f32 v69, v96, s4, -v66
	v_fmac_f32_e32 v60, 0x3f737871, v98
	v_sub_f32_e32 v66, v68, v69
	v_sub_f32_e32 v73, v6, v60
	v_add_f32_e32 v65, v68, v69
	v_add_f32_e32 v64, v6, v60
	;; [unrolled: 1-line block ×4, first 2 shown]
	v_add_u32_e32 v6, 0x1c20, v38
	ds_write2_b64 v6, v[68:69], v[64:65] offset1:1
	v_add_u32_e32 v6, 0x1c30, v38
	ds_write2_b64 v6, v[62:63], v[72:73] offset1:1
	ds_write_b64 v38, v[66:67] offset:7232
.LBB0_17:
	s_or_b64 exec, exec, s[0:1]
	s_movk_i32 s0, 0xffdc
	v_mad_i32_i24 v56, v87, s0, v38
	v_add_u32_e32 v16, 0xc00, v56
	s_waitcnt lgkmcnt(0)
	s_barrier
	ds_read2_b32 v[83:84], v16 offset0:72 offset1:162
	v_add_u32_e32 v16, 0x1800, v56
	ds_read2_b32 v[85:86], v16 offset0:54 offset1:144
	v_add_u32_e32 v16, 0x400, v56
	;; [unrolled: 2-line block ×5, first 2 shown]
	v_add_u32_e32 v6, 0x800, v56
	ds_read2_b32 v[66:67], v16 offset0:66 offset1:156
	v_add_u32_e32 v16, 0x1200, v56
	ds_read2_b32 v[64:65], v6 offset0:118 offset1:238
	;; [unrolled: 2-line block ×3, first 2 shown]
	v_add_u32_e32 v16, 0x1c00, v56
	ds_read2_b32 v[68:69], v56 offset1:180
	ds_read2_b32 v[73:74], v6 offset0:100 offset1:220
	v_mad_i32_i24 v6, v88, s0, v20
	ds_read2_b32 v[75:76], v16 offset0:158 offset1:248
	ds_read_b32 v16, v6
	ds_read_b32 v40, v56 offset:8520
	v_cmp_gt_u32_e64 s[0:1], 30, v87
	s_and_saveexec_b64 s[4:5], s[0:1]
	s_cbranch_execz .LBB0_19
; %bb.18:
	ds_read_b32 v62, v56 offset:2880
	ds_read_b32 v63, v56 offset:5880
	;; [unrolled: 1-line block ×3, first 2 shown]
.LBB0_19:
	s_or_b64 exec, exec, s[4:5]
	v_add_f32_e32 v60, v43, v49
	v_fma_f32 v60, -0.5, v60, v29
	v_sub_f32_e32 v44, v46, v44
	v_mov_b32_e32 v46, v60
	v_fmac_f32_e32 v46, 0xbf737871, v44
	v_sub_f32_e32 v42, v48, v42
	v_sub_f32_e32 v48, v47, v49
	;; [unrolled: 1-line block ×3, first 2 shown]
	v_fmac_f32_e32 v60, 0x3f737871, v44
	v_fmac_f32_e32 v46, 0xbf167918, v42
	v_add_f32_e32 v48, v103, v48
	v_fmac_f32_e32 v60, 0x3f167918, v42
	v_add_f32_e32 v6, v47, v29
	v_fmac_f32_e32 v46, 0x3e9e377a, v48
	v_fmac_f32_e32 v60, 0x3e9e377a, v48
	v_add_f32_e32 v48, v45, v47
	v_add_f32_e32 v6, v49, v6
	v_fmac_f32_e32 v29, -0.5, v48
	v_add_f32_e32 v31, v39, v31
	v_add_f32_e32 v6, v43, v6
	v_mov_b32_e32 v48, v29
	v_sub_f32_e32 v47, v49, v47
	v_sub_f32_e32 v43, v43, v45
	v_fmac_f32_e32 v29, 0xbf737871, v42
	v_add_f32_e32 v31, v37, v31
	v_mul_f32_e32 v37, 0xbf167918, v34
	s_mov_b32 s6, 0xbf737871
	v_fmac_f32_e32 v48, 0x3f737871, v42
	v_add_f32_e32 v43, v43, v47
	v_fmac_f32_e32 v29, 0x3f167918, v44
	v_fmac_f32_e32 v37, 0x3f4f1bbd, v36
	v_mul_f32_e32 v36, 0x3e9e377a, v91
	s_mov_b32 s4, 0xbf167918
	v_fmac_f32_e32 v48, 0xbf167918, v44
	v_fmac_f32_e32 v29, 0x3e9e377a, v43
	v_fma_f32 v44, v30, s6, -v36
	v_mul_f32_e32 v30, 0x3f4f1bbd, v32
	v_add_f32_e32 v36, v29, v44
	v_fma_f32 v32, v89, s4, -v30
	v_sub_f32_e32 v44, v29, v44
	v_add_f32_e32 v29, v25, v15
	v_add_f32_e32 v6, v45, v6
	;; [unrolled: 1-line block ×3, first 2 shown]
	v_sub_f32_e32 v45, v60, v32
	v_fma_f32 v32, -0.5, v29, v3
	v_sub_f32_e32 v12, v12, v26
	v_mov_b32_e32 v29, v32
	v_fmac_f32_e32 v29, 0xbf737871, v12
	v_sub_f32_e32 v14, v14, v24
	v_sub_f32_e32 v24, v13, v15
	;; [unrolled: 1-line block ×3, first 2 shown]
	v_fmac_f32_e32 v32, 0x3f737871, v12
	v_add_f32_e32 v31, v35, v31
	v_fmac_f32_e32 v29, 0xbf167918, v14
	v_add_f32_e32 v24, v26, v24
	;; [unrolled: 2-line block ×3, first 2 shown]
	v_fmac_f32_e32 v29, 0x3e9e377a, v24
	v_fmac_f32_e32 v32, 0x3e9e377a, v24
	v_add_f32_e32 v24, v27, v13
	v_add_f32_e32 v33, v31, v6
	v_sub_f32_e32 v31, v6, v31
	v_add_f32_e32 v6, v13, v3
	v_fmac_f32_e32 v3, -0.5, v24
	v_add_f32_e32 v34, v46, v37
	v_sub_f32_e32 v42, v46, v37
	v_mov_b32_e32 v37, v3
	v_add_f32_e32 v6, v15, v6
	v_fmac_f32_e32 v37, 0x3f737871, v14
	v_sub_f32_e32 v13, v15, v13
	v_sub_f32_e32 v15, v25, v27
	v_fmac_f32_e32 v3, 0xbf737871, v14
	v_fmac_f32_e32 v37, 0xbf167918, v12
	v_add_f32_e32 v13, v15, v13
	v_fmac_f32_e32 v3, 0x3f167918, v12
	v_fmac_f32_e32 v37, 0x3e9e377a, v13
	v_fmac_f32_e32 v3, 0x3e9e377a, v13
	v_mul_f32_e32 v13, 0x3e9e377a, v94
	v_add_f32_e32 v6, v25, v6
	v_add_f32_e32 v5, v11, v5
	v_fma_f32 v4, v4, s6, -v13
	v_add_f32_e32 v6, v27, v6
	v_add_f32_e32 v5, v19, v5
	;; [unrolled: 1-line block ×3, first 2 shown]
	v_sub_f32_e32 v46, v3, v4
	v_add_f32_e32 v3, v23, v7
	v_add_f32_e32 v5, v17, v5
	;; [unrolled: 1-line block ×6, first 2 shown]
	v_mul_f32_e32 v11, 0xbf167918, v97
	v_mul_f32_e32 v13, 0x3f4f1bbd, v18
	v_sub_f32_e32 v18, v6, v5
	v_add_f32_e32 v5, v55, v3
	v_add_f32_e32 v3, v53, v51
	v_fmac_f32_e32 v11, 0x3f4f1bbd, v99
	v_mul_f32_e32 v12, 0xbf737871, v93
	v_fma_f32 v4, -0.5, v3, v7
	v_add_f32_e32 v25, v29, v11
	v_fmac_f32_e32 v12, 0x3e9e377a, v95
	v_fma_f32 v13, v28, s4, -v13
	v_sub_f32_e32 v28, v29, v11
	v_sub_f32_e32 v11, v22, v54
	v_mov_b32_e32 v6, v4
	v_add_f32_e32 v26, v37, v12
	v_add_f32_e32 v17, v32, v13
	v_sub_f32_e32 v29, v37, v12
	v_sub_f32_e32 v47, v32, v13
	v_fmac_f32_e32 v6, 0xbf737871, v11
	v_sub_f32_e32 v12, v50, v52
	v_sub_f32_e32 v3, v23, v51
	;; [unrolled: 1-line block ×3, first 2 shown]
	v_fmac_f32_e32 v4, 0x3f737871, v11
	v_fmac_f32_e32 v6, 0xbf167918, v12
	v_add_f32_e32 v3, v13, v3
	v_fmac_f32_e32 v4, 0x3f167918, v12
	v_fmac_f32_e32 v6, 0x3e9e377a, v3
	;; [unrolled: 1-line block ×3, first 2 shown]
	v_add_f32_e32 v3, v41, v9
	v_add_f32_e32 v3, v57, v3
	;; [unrolled: 1-line block ×3, first 2 shown]
	v_mul_f32_e32 v39, 0xbf737871, v90
	v_add_f32_e32 v14, v61, v3
	v_mul_f32_e32 v15, 0xbf167918, v100
	v_mul_f32_e32 v3, 0x3f4f1bbd, v101
	v_fmac_f32_e32 v48, 0x3e9e377a, v43
	v_fmac_f32_e32 v39, 0x3e9e377a, v92
	;; [unrolled: 1-line block ×3, first 2 shown]
	v_fma_f32 v13, v2, s4, -v3
	v_mul_i32_i24_e32 v58, 0xffffffdc, v88
	v_add_f32_e32 v35, v48, v39
	v_add_f32_e32 v2, v4, v13
	v_sub_f32_e32 v3, v5, v14
	v_sub_f32_e32 v9, v6, v15
	v_add_u32_e32 v49, 0xb4, v87
	v_sub_f32_e32 v43, v48, v39
	s_waitcnt lgkmcnt(0)
	s_barrier
	ds_write2_b64 v38, v[33:34], v[35:36] offset1:1
	ds_write2_b64 v38, v[30:31], v[42:43] offset0:2 offset1:3
	ds_write_b64 v38, v[44:45] offset:32
	ds_write2_b64 v20, v[24:25], v[26:27] offset1:1
	ds_write2_b64 v20, v[17:18], v[28:29] offset0:2 offset1:3
	ds_write_b64 v20, v[46:47] offset:32
	s_and_saveexec_b64 s[4:5], s[2:3]
	s_cbranch_execz .LBB0_21
; %bb.20:
	v_add_f32_e32 v17, v55, v23
	v_fmac_f32_e32 v7, -0.5, v17
	v_mov_b32_e32 v17, v7
	v_sub_f32_e32 v18, v51, v23
	v_sub_f32_e32 v19, v53, v55
	v_fmac_f32_e32 v7, 0xbf737871, v12
	v_fmac_f32_e32 v17, 0x3f737871, v12
	v_add_f32_e32 v18, v19, v18
	v_fmac_f32_e32 v7, 0x3f167918, v11
	v_mul_f32_e32 v12, 0x3e9e377a, v96
	v_fmac_f32_e32 v17, 0xbf167918, v11
	v_fmac_f32_e32 v7, 0x3e9e377a, v18
	v_mul_f32_e32 v10, 0xbf737871, v10
	v_fma_f32 v8, v8, s6, -v12
	v_fmac_f32_e32 v17, 0x3e9e377a, v18
	v_fmac_f32_e32 v10, 0x3e9e377a, v98
	v_add_f32_e32 v12, v7, v8
	v_sub_f32_e32 v7, v7, v8
	v_sub_f32_e32 v8, v4, v13
	v_mul_u32_u24_e32 v4, 10, v49
	v_add_f32_e32 v5, v14, v5
	v_add_f32_e32 v6, v6, v15
	;; [unrolled: 1-line block ×3, first 2 shown]
	v_lshl_add_u32 v4, v4, 2, 0
	v_sub_f32_e32 v10, v17, v10
	ds_write2_b64 v4, v[5:6], v[11:12] offset1:1
	ds_write2_b64 v4, v[2:3], v[9:10] offset0:2 offset1:3
	ds_write_b64 v4, v[7:8] offset:32
.LBB0_21:
	s_or_b64 exec, exec, s[4:5]
	v_add_u32_e32 v8, 0xc00, v56
	s_waitcnt lgkmcnt(0)
	s_barrier
	ds_read2_b32 v[25:26], v8 offset0:72 offset1:162
	v_add_u32_e32 v8, 0x1800, v56
	ds_read2_b32 v[27:28], v8 offset0:54 offset1:144
	v_add_u32_e32 v8, 0x400, v56
	v_add_u32_e32 v54, v20, v58
	ds_read2_b32 v[19:20], v8 offset0:14 offset1:104
	v_add_u32_e32 v8, 0xe00, v56
	ds_read2_b32 v[23:24], v8 offset0:124 offset1:214
	v_add_u32_e32 v8, 0x1a00, v56
	ds_read2_b32 v[14:15], v8 offset0:106 offset1:196
	v_add_u32_e32 v8, 0x600, v56
	ds_read2_b32 v[21:22], v8 offset0:66 offset1:156
	v_add_u32_e32 v8, 0x1200, v56
	v_add_u32_e32 v4, 0x800, v56
	;; [unrolled: 1-line block ×3, first 2 shown]
	ds_read2_b32 v[12:13], v8 offset0:48 offset1:138
	v_add_u32_e32 v8, 0x1c00, v56
	ds_read2_b32 v[17:18], v56 offset1:180
	ds_read2_b32 v[4:5], v4 offset0:118 offset1:238
	ds_read2_b32 v[6:7], v6 offset0:100 offset1:220
	;; [unrolled: 1-line block ×3, first 2 shown]
	ds_read_b32 v42, v54
	ds_read_b32 v8, v56 offset:8520
	s_and_saveexec_b64 s[2:3], s[0:1]
	s_cbranch_execz .LBB0_23
; %bb.22:
	ds_read_b32 v2, v56 offset:2880
	ds_read_b32 v3, v56 offset:5880
	;; [unrolled: 1-line block ×3, first 2 shown]
.LBB0_23:
	s_or_b64 exec, exec, s[2:3]
	s_movk_i32 s2, 0xcd
	v_mul_lo_u16_sdwa v29, v87, s2 dst_sel:DWORD dst_unused:UNUSED_PAD src0_sel:BYTE_0 src1_sel:DWORD
	v_mul_lo_u16_sdwa v31, v88, s2 dst_sel:DWORD dst_unused:UNUSED_PAD src0_sel:BYTE_0 src1_sel:DWORD
	v_lshrrev_b16_e32 v61, 11, v29
	v_lshrrev_b16_e32 v118, 11, v31
	v_mul_lo_u16_e32 v29, 10, v61
	v_mul_lo_u16_e32 v31, 10, v118
	v_sub_u16_e32 v117, v87, v29
	v_mov_b32_e32 v29, 4
	v_sub_u16_e32 v119, v88, v31
	v_lshlrev_b32_sdwa v30, v29, v117 dst_sel:DWORD dst_unused:UNUSED_PAD src0_sel:DWORD src1_sel:BYTE_0
	v_lshlrev_b32_sdwa v29, v29, v119 dst_sel:DWORD dst_unused:UNUSED_PAD src0_sel:DWORD src1_sel:BYTE_0
	s_mov_b32 s2, 0xcccd
	global_load_dwordx4 v[32:35], v30, s[8:9]
	global_load_dwordx4 v[36:39], v29, s[8:9]
	v_mul_u32_u24_sdwa v29, v49, s2 dst_sel:DWORD dst_unused:UNUSED_PAD src0_sel:WORD_0 src1_sel:DWORD
	v_lshrrev_b32_e32 v120, 19, v29
	v_mul_lo_u16_e32 v29, 10, v120
	v_sub_u16_e32 v121, v49, v29
	v_lshlrev_b32_e32 v29, 4, v121
	v_add_u32_e32 v51, 0x10e, v87
	global_load_dwordx4 v[89:92], v29, s[8:9]
	v_mul_u32_u24_sdwa v29, v51, s2 dst_sel:DWORD dst_unused:UNUSED_PAD src0_sel:WORD_0 src1_sel:DWORD
	v_lshrrev_b32_e32 v122, 19, v29
	v_mul_lo_u16_e32 v29, 10, v122
	v_sub_u16_e32 v123, v51, v29
	v_lshlrev_b32_e32 v29, 4, v123
	v_add_u32_e32 v50, 0x168, v87
	;; [unrolled: 7-line block ×6, first 2 shown]
	global_load_dwordx4 v[109:112], v29, s[8:9]
	v_mul_u32_u24_sdwa v29, v47, s2 dst_sel:DWORD dst_unused:UNUSED_PAD src0_sel:WORD_0 src1_sel:DWORD
	v_lshrrev_b32_e32 v132, 19, v29
	v_mul_lo_u16_e32 v29, 10, v132
	v_sub_u16_e32 v133, v47, v29
	v_lshlrev_b32_e32 v29, 4, v133
	global_load_dwordx4 v[113:116], v29, s[8:9]
	v_mul_u32_u24_e32 v61, 0x78, v61
	s_waitcnt vmcnt(0) lgkmcnt(0)
	s_barrier
	v_mul_f32_e32 v41, v65, v33
	v_mul_f32_e32 v43, v5, v33
	;; [unrolled: 1-line block ×3, first 2 shown]
	v_fmac_f32_e32 v41, v5, v32
	v_mul_f32_e32 v33, v7, v35
	v_mul_f32_e32 v44, v25, v37
	v_fmac_f32_e32 v31, v25, v36
	v_fma_f32 v60, v74, v34, -v33
	v_fma_f32 v57, v83, v36, -v44
	;; [unrolled: 1-line block ×3, first 2 shown]
	v_mul_f32_e32 v45, v74, v35
	v_mul_f32_e32 v37, v27, v39
	;; [unrolled: 1-line block ×6, first 2 shown]
	v_fma_f32 v25, v81, v93, -v5
	v_mul_f32_e32 v5, v14, v96
	v_mul_f32_e32 v33, v81, v94
	v_fma_f32 v36, v79, v95, -v5
	v_fmac_f32_e32 v33, v23, v93
	v_mul_f32_e32 v44, v79, v96
	v_mul_f32_e32 v5, v24, v98
	v_fma_f32 v23, v82, v97, -v5
	v_mul_f32_e32 v5, v15, v100
	v_fma_f32 v32, v80, v99, -v5
	v_fmac_f32_e32 v44, v14, v95
	v_fma_f32 v58, v85, v38, -v37
	v_fmac_f32_e32 v35, v27, v38
	v_mul_f32_e32 v5, v12, v102
	v_fma_f32 v14, v77, v101, -v5
	v_mul_f32_e32 v5, v10, v104
	v_fma_f32 v38, v84, v89, -v39
	v_fmac_f32_e32 v29, v26, v89
	v_mul_f32_e32 v39, v80, v100
	v_fma_f32 v26, v75, v103, -v5
	v_mul_f32_e32 v37, v75, v104
	v_mul_f32_e32 v5, v13, v106
	;; [unrolled: 1-line block ×3, first 2 shown]
	v_fmac_f32_e32 v39, v15, v99
	v_fmac_f32_e32 v37, v10, v103
	v_fma_f32 v10, v78, v105, -v5
	v_mul_f32_e32 v15, v78, v106
	v_mul_f32_e32 v5, v11, v108
	;; [unrolled: 1-line block ×3, first 2 shown]
	v_fmac_f32_e32 v30, v28, v91
	v_mul_f32_e32 v28, v82, v98
	v_fmac_f32_e32 v15, v13, v105
	v_fma_f32 v13, v76, v107, -v5
	v_mul_f32_e32 v5, v6, v110
	v_fmac_f32_e32 v45, v7, v34
	v_fmac_f32_e32 v28, v24, v97
	v_mul_f32_e32 v24, v77, v102
	v_fma_f32 v7, v73, v109, -v5
	v_mul_f32_e32 v5, v8, v112
	v_fmac_f32_e32 v24, v12, v101
	v_mul_f32_e32 v34, v76, v108
	v_fma_f32 v12, v40, v111, -v5
	v_mul_f32_e32 v27, v40, v112
	v_add_f32_e32 v40, v59, v60
	v_fmac_f32_e32 v34, v11, v107
	v_mul_f32_e32 v11, v73, v110
	v_mul_f32_e32 v5, v3, v114
	v_fma_f32 v40, -0.5, v40, v68
	v_fma_f32 v43, v86, v91, -v48
	v_fmac_f32_e32 v11, v6, v109
	v_fma_f32 v6, v63, v113, -v5
	v_mul_f32_e32 v5, v63, v114
	v_sub_f32_e32 v48, v41, v45
	v_mov_b32_e32 v63, v40
	v_fmac_f32_e32 v63, 0x3f5db3d7, v48
	v_fmac_f32_e32 v40, 0xbf5db3d7, v48
	v_add_f32_e32 v48, v16, v57
	v_fmac_f32_e32 v5, v3, v113
	v_mul_f32_e32 v3, v9, v116
	v_add_f32_e32 v65, v48, v58
	v_add_f32_e32 v48, v57, v58
	v_fmac_f32_e32 v27, v8, v111
	v_fma_f32 v8, v72, v115, -v3
	v_mul_f32_e32 v3, v72, v116
	v_fmac_f32_e32 v16, -0.5, v48
	v_fmac_f32_e32 v3, v9, v115
	v_add_f32_e32 v9, v68, v59
	v_sub_f32_e32 v48, v31, v35
	v_mov_b32_e32 v68, v16
	v_fmac_f32_e32 v68, 0x3f5db3d7, v48
	v_fmac_f32_e32 v16, 0xbf5db3d7, v48
	v_add_f32_e32 v48, v69, v38
	v_add_f32_e32 v72, v48, v43
	;; [unrolled: 1-line block ×3, first 2 shown]
	v_fmac_f32_e32 v69, -0.5, v48
	v_sub_f32_e32 v48, v29, v30
	v_mov_b32_e32 v73, v69
	v_fmac_f32_e32 v73, 0x3f5db3d7, v48
	v_fmac_f32_e32 v69, 0xbf5db3d7, v48
	v_add_f32_e32 v48, v70, v25
	v_add_f32_e32 v74, v48, v36
	;; [unrolled: 1-line block ×3, first 2 shown]
	v_fma_f32 v70, -0.5, v48, v70
	v_sub_f32_e32 v48, v33, v44
	v_mov_b32_e32 v75, v70
	v_fmac_f32_e32 v75, 0x3f5db3d7, v48
	v_fmac_f32_e32 v70, 0xbf5db3d7, v48
	v_add_f32_e32 v48, v71, v23
	v_add_f32_e32 v76, v48, v32
	;; [unrolled: 1-line block ×3, first 2 shown]
	v_fmac_f32_e32 v71, -0.5, v48
	v_sub_f32_e32 v48, v28, v39
	v_mov_b32_e32 v77, v71
	v_fmac_f32_e32 v77, 0x3f5db3d7, v48
	v_fmac_f32_e32 v71, 0xbf5db3d7, v48
	v_add_f32_e32 v48, v66, v14
	v_add_f32_e32 v78, v48, v26
	;; [unrolled: 1-line block ×3, first 2 shown]
	v_fma_f32 v79, -0.5, v48, v66
	v_sub_f32_e32 v48, v24, v37
	v_mov_b32_e32 v80, v79
	v_fmac_f32_e32 v80, 0x3f5db3d7, v48
	v_fmac_f32_e32 v79, 0xbf5db3d7, v48
	v_add_f32_e32 v48, v67, v10
	v_add_f32_e32 v81, v48, v13
	;; [unrolled: 1-line block ×3, first 2 shown]
	v_fmac_f32_e32 v67, -0.5, v48
	v_sub_f32_e32 v48, v15, v34
	v_mov_b32_e32 v82, v67
	v_fmac_f32_e32 v82, 0x3f5db3d7, v48
	v_fmac_f32_e32 v67, 0xbf5db3d7, v48
	v_add_f32_e32 v48, v64, v7
	v_add_f32_e32 v83, v48, v12
	;; [unrolled: 1-line block ×3, first 2 shown]
	v_fmac_f32_e32 v64, -0.5, v48
	v_sub_f32_e32 v48, v11, v27
	v_mov_b32_e32 v84, v64
	v_fmac_f32_e32 v84, 0x3f5db3d7, v48
	v_fmac_f32_e32 v64, 0xbf5db3d7, v48
	v_add_f32_e32 v48, v6, v8
	v_fma_f32 v48, -0.5, v48, v62
	v_sub_f32_e32 v66, v5, v3
	v_mov_b32_e32 v55, v48
	v_fmac_f32_e32 v55, 0x3f5db3d7, v66
	v_fmac_f32_e32 v48, 0xbf5db3d7, v66
	v_mov_b32_e32 v66, 2
	v_lshlrev_b32_sdwa v85, v66, v117 dst_sel:DWORD dst_unused:UNUSED_PAD src0_sel:DWORD src1_sel:BYTE_0
	v_add_f32_e32 v9, v9, v60
	v_add3_u32 v61, 0, v61, v85
	ds_write2_b32 v61, v9, v63 offset1:10
	ds_write_b32 v61, v40 offset:80
	v_mul_u32_u24_e32 v9, 0x78, v118
	v_lshlrev_b32_sdwa v40, v66, v119 dst_sel:DWORD dst_unused:UNUSED_PAD src0_sel:DWORD src1_sel:BYTE_0
	v_add3_u32 v63, 0, v9, v40
	ds_write2_b32 v63, v65, v68 offset1:10
	ds_write_b32 v63, v16 offset:80
	v_mul_u32_u24_e32 v9, 0x78, v120
	v_lshlrev_b32_e32 v16, 2, v121
	v_add3_u32 v65, 0, v9, v16
	v_mul_u32_u24_e32 v9, 0x78, v122
	v_lshlrev_b32_e32 v16, 2, v123
	v_add3_u32 v66, 0, v9, v16
	;; [unrolled: 3-line block ×3, first 2 shown]
	v_mul_u32_u24_e32 v9, 0x78, v126
	v_lshlrev_b32_e32 v16, 2, v127
	ds_write2_b32 v65, v72, v73 offset1:10
	ds_write_b32 v65, v69 offset:80
	v_add3_u32 v69, 0, v9, v16
	v_mul_u32_u24_e32 v9, 0x78, v128
	v_lshlrev_b32_e32 v16, 2, v129
	ds_write2_b32 v66, v74, v75 offset1:10
	ds_write_b32 v66, v70 offset:80
	v_add3_u32 v70, 0, v9, v16
	;; [unrolled: 5-line block ×3, first 2 shown]
	ds_write2_b32 v69, v78, v80 offset1:10
	ds_write_b32 v69, v79 offset:80
	ds_write2_b32 v70, v81, v82 offset1:10
	ds_write_b32 v70, v67 offset:80
	;; [unrolled: 2-line block ×3, first 2 shown]
	v_mul_lo_u16_e32 v64, 30, v132
	v_lshlrev_b32_e32 v67, 2, v133
	s_and_saveexec_b64 s[2:3], s[0:1]
	s_cbranch_execz .LBB0_25
; %bb.24:
	v_add_f32_e32 v9, v62, v6
	v_lshlrev_b32_e32 v16, 2, v64
	v_add_f32_e32 v9, v9, v8
	v_add3_u32 v16, 0, v67, v16
	ds_write2_b32 v16, v9, v55 offset1:10
	ds_write_b32 v16, v48 offset:80
.LBB0_25:
	s_or_b64 exec, exec, s[2:3]
	v_add_f32_e32 v9, v17, v41
	v_add_f32_e32 v62, v9, v45
	;; [unrolled: 1-line block ×3, first 2 shown]
	v_fma_f32 v72, -0.5, v9, v17
	v_sub_f32_e32 v9, v59, v60
	v_mov_b32_e32 v59, v72
	v_fmac_f32_e32 v59, 0xbf5db3d7, v9
	v_fmac_f32_e32 v72, 0x3f5db3d7, v9
	v_add_f32_e32 v9, v42, v31
	v_add_f32_e32 v60, v9, v35
	;; [unrolled: 1-line block ×3, first 2 shown]
	v_fmac_f32_e32 v42, -0.5, v9
	v_sub_f32_e32 v9, v57, v58
	v_mov_b32_e32 v73, v42
	v_fmac_f32_e32 v73, 0xbf5db3d7, v9
	v_fmac_f32_e32 v42, 0x3f5db3d7, v9
	v_add_f32_e32 v9, v18, v29
	v_add_f32_e32 v74, v9, v30
	;; [unrolled: 1-line block ×3, first 2 shown]
	v_fmac_f32_e32 v18, -0.5, v9
	v_sub_f32_e32 v9, v38, v43
	v_mov_b32_e32 v75, v18
	v_fmac_f32_e32 v75, 0xbf5db3d7, v9
	v_fmac_f32_e32 v18, 0x3f5db3d7, v9
	v_add_f32_e32 v9, v19, v33
	v_add_f32_e32 v76, v9, v44
	v_add_f32_e32 v9, v33, v44
	v_fma_f32 v77, -0.5, v9, v19
	v_sub_f32_e32 v9, v25, v36
	v_mov_b32_e32 v78, v77
	v_fmac_f32_e32 v78, 0xbf5db3d7, v9
	v_fmac_f32_e32 v77, 0x3f5db3d7, v9
	v_add_f32_e32 v9, v20, v28
	v_add_f32_e32 v79, v9, v39
	;; [unrolled: 1-line block ×3, first 2 shown]
	v_fmac_f32_e32 v20, -0.5, v9
	v_sub_f32_e32 v9, v23, v32
	v_mov_b32_e32 v80, v20
	v_fmac_f32_e32 v80, 0xbf5db3d7, v9
	v_fmac_f32_e32 v20, 0x3f5db3d7, v9
	v_add_f32_e32 v9, v21, v24
	v_add_f32_e32 v81, v9, v37
	;; [unrolled: 1-line block ×3, first 2 shown]
	v_fma_f32 v82, -0.5, v9, v21
	v_sub_f32_e32 v9, v14, v26
	v_mov_b32_e32 v83, v82
	v_fmac_f32_e32 v83, 0xbf5db3d7, v9
	v_fmac_f32_e32 v82, 0x3f5db3d7, v9
	v_add_f32_e32 v9, v22, v15
	v_add_f32_e32 v84, v9, v34
	v_add_f32_e32 v9, v15, v34
	v_fmac_f32_e32 v22, -0.5, v9
	v_sub_f32_e32 v9, v10, v13
	v_mov_b32_e32 v85, v22
	v_fmac_f32_e32 v85, 0xbf5db3d7, v9
	v_fmac_f32_e32 v22, 0x3f5db3d7, v9
	v_add_f32_e32 v9, v4, v11
	v_add_f32_e32 v86, v9, v27
	;; [unrolled: 1-line block ×3, first 2 shown]
	v_fmac_f32_e32 v4, -0.5, v9
	v_sub_f32_e32 v7, v7, v12
	v_mov_b32_e32 v89, v4
	v_fmac_f32_e32 v89, 0xbf5db3d7, v7
	v_fmac_f32_e32 v4, 0x3f5db3d7, v7
	v_add_f32_e32 v7, v5, v3
	v_fma_f32 v57, -0.5, v7, v2
	v_sub_f32_e32 v6, v6, v8
	v_mov_b32_e32 v58, v57
	v_add_u32_e32 v19, 0x600, v56
	v_add_u32_e32 v35, 0xc00, v56
	;; [unrolled: 1-line block ×11, first 2 shown]
	v_fmac_f32_e32 v58, 0xbf5db3d7, v6
	v_fmac_f32_e32 v57, 0x3f5db3d7, v6
	s_waitcnt lgkmcnt(0)
	s_barrier
	ds_read2_b32 v[6:7], v56 offset1:180
	ds_read2_b32 v[33:34], v19 offset0:66 offset1:156
	ds_read2_b32 v[12:13], v35 offset0:42 offset1:132
	;; [unrolled: 1-line block ×4, first 2 shown]
	ds_read_b32 v41, v54
	ds_read2_b32 v[29:30], v37 offset0:94 offset1:184
	ds_read2_b32 v[27:28], v36 offset0:98 offset1:188
	ds_read2_b32 v[25:26], v40 offset0:118 offset1:208
	ds_read2_b32 v[23:24], v43 offset0:122 offset1:212
	ds_read2_b32 v[8:9], v39 offset0:14 offset1:104
	ds_read2_b32 v[16:17], v44 offset0:146 offset1:236
	ds_read2_b32 v[14:15], v45 offset0:22 offset1:112
	s_waitcnt lgkmcnt(0)
	s_barrier
	ds_write2_b32 v61, v62, v59 offset1:10
	ds_write_b32 v61, v72 offset:80
	ds_write2_b32 v63, v60, v73 offset1:10
	ds_write_b32 v63, v42 offset:80
	;; [unrolled: 2-line block ×8, first 2 shown]
	s_and_saveexec_b64 s[2:3], s[0:1]
	s_cbranch_execz .LBB0_27
; %bb.26:
	v_add_f32_e32 v2, v2, v5
	v_add_f32_e32 v2, v2, v3
	v_lshlrev_b32_e32 v3, 2, v64
	v_add3_u32 v3, 0, v67, v3
	ds_write2_b32 v3, v2, v58 offset1:10
	ds_write_b32 v3, v57 offset:80
.LBB0_27:
	s_or_b64 exec, exec, s[2:3]
	s_movk_i32 s2, 0x89
	v_mul_lo_u16_sdwa v18, v87, s2 dst_sel:DWORD dst_unused:UNUSED_PAD src0_sel:BYTE_0 src1_sel:DWORD
	v_lshrrev_b16_e32 v18, 12, v18
	v_mul_lo_u16_e32 v22, 30, v18
	v_sub_u16_e32 v42, v87, v22
	v_mov_b32_e32 v71, 2
	v_mov_b32_e32 v72, 5
	v_lshlrev_b32_sdwa v22, v71, v42 dst_sel:DWORD dst_unused:UNUSED_PAD src0_sel:DWORD src1_sel:BYTE_0
	v_lshlrev_b32_sdwa v42, v72, v42 dst_sel:DWORD dst_unused:UNUSED_PAD src0_sel:DWORD src1_sel:BYTE_0
	s_waitcnt lgkmcnt(0)
	s_barrier
	ds_read2_b32 v[2:3], v56 offset1:180
	ds_read2_b32 v[59:60], v19 offset0:66 offset1:156
	ds_read2_b32 v[93:94], v35 offset0:42 offset1:132
	ds_read2_b32 v[73:74], v38 offset0:70 offset1:160
	ds_read2_b32 v[103:104], v21 offset0:46 offset1:136
	ds_read_b32 v20, v54
	ds_read2_b32 v[75:76], v37 offset0:94 offset1:184
	ds_read2_b32 v[84:85], v36 offset0:98 offset1:188
	;; [unrolled: 1-line block ×7, first 2 shown]
	global_load_dwordx4 v[63:66], v42, s[8:9] offset:176
	global_load_dwordx4 v[67:70], v42, s[8:9] offset:160
	v_mul_u32_u24_e32 v18, 0x258, v18
	s_waitcnt vmcnt(1)
	v_mul_f32_e32 v43, v31, v64
	s_waitcnt vmcnt(0) lgkmcnt(11)
	v_mul_f32_e32 v42, v59, v68
	v_fma_f32 v45, v33, v67, -v42
	s_waitcnt lgkmcnt(10)
	v_mul_f32_e32 v42, v94, v70
	v_fma_f32 v61, v13, v69, -v42
	v_mul_f32_e32 v42, v13, v70
	s_waitcnt lgkmcnt(9)
	v_mul_f32_e32 v13, v73, v64
	v_fma_f32 v62, v31, v63, -v13
	s_waitcnt lgkmcnt(8)
	v_mul_f32_e32 v13, v104, v66
	v_fma_f32 v64, v11, v65, -v13
	v_mul_f32_e32 v44, v11, v66
	v_mul_lo_u16_sdwa v11, v88, s2 dst_sel:DWORD dst_unused:UNUSED_PAD src0_sel:BYTE_0 src1_sel:DWORD
	v_lshrrev_b16_e32 v11, 12, v11
	v_mul_lo_u16_e32 v13, 30, v11
	v_sub_u16_e32 v31, v88, v13
	v_mul_f32_e32 v33, v33, v68
	v_lshlrev_b32_sdwa v13, v71, v31 dst_sel:DWORD dst_unused:UNUSED_PAD src0_sel:DWORD src1_sel:BYTE_0
	v_lshlrev_b32_sdwa v31, v72, v31 dst_sel:DWORD dst_unused:UNUSED_PAD src0_sel:DWORD src1_sel:BYTE_0
	v_fmac_f32_e32 v33, v59, v67
	v_fmac_f32_e32 v42, v94, v69
	;; [unrolled: 1-line block ×3, first 2 shown]
	global_load_dwordx4 v[70:73], v31, s[8:9] offset:176
	global_load_dwordx4 v[66:69], v31, s[8:9] offset:160
	v_fmac_f32_e32 v44, v104, v65
	s_mov_b32 s2, 0x8889
	s_waitcnt vmcnt(0)
	v_mul_f32_e32 v31, v60, v67
	v_fma_f32 v65, v34, v66, -v31
	v_mul_f32_e32 v34, v34, v67
	s_waitcnt lgkmcnt(6)
	v_mul_f32_e32 v31, v75, v69
	v_fmac_f32_e32 v34, v60, v66
	v_fma_f32 v66, v29, v68, -v31
	v_mul_f32_e32 v63, v29, v69
	v_mul_f32_e32 v29, v74, v71
	v_fmac_f32_e32 v63, v75, v68
	v_fma_f32 v68, v32, v70, -v29
	s_waitcnt lgkmcnt(5)
	v_mul_f32_e32 v29, v84, v73
	v_mul_f32_e32 v32, v32, v71
	v_fma_f32 v71, v27, v72, -v29
	v_mul_u32_u24_sdwa v29, v49, s2 dst_sel:DWORD dst_unused:UNUSED_PAD src0_sel:WORD_0 src1_sel:DWORD
	v_lshrrev_b32_e32 v29, 20, v29
	v_mul_lo_u16_e32 v31, 30, v29
	v_sub_u16_e32 v59, v49, v31
	v_mul_f32_e32 v27, v27, v73
	v_lshlrev_b32_e32 v31, 2, v59
	v_lshlrev_b32_e32 v59, 5, v59
	v_fmac_f32_e32 v27, v84, v72
	global_load_dwordx4 v[77:80], v59, s[8:9] offset:176
	global_load_dwordx4 v[81:84], v59, s[8:9] offset:160
	v_fmac_f32_e32 v32, v74, v70
	v_sub_f32_e32 v60, v63, v32
	s_waitcnt vmcnt(1)
	v_mul_f32_e32 v70, v23, v78
	s_waitcnt vmcnt(0) lgkmcnt(4)
	v_mul_f32_e32 v59, v95, v82
	v_fma_f32 v73, v25, v81, -v59
	v_mul_f32_e32 v67, v25, v82
	v_mul_f32_e32 v25, v76, v84
	v_fma_f32 v74, v30, v83, -v25
	s_waitcnt lgkmcnt(3)
	v_mul_f32_e32 v25, v97, v78
	v_fma_f32 v75, v23, v77, -v25
	v_mul_f32_e32 v23, v85, v80
	v_fma_f32 v78, v28, v79, -v23
	v_mul_u32_u24_sdwa v23, v51, s2 dst_sel:DWORD dst_unused:UNUSED_PAD src0_sel:WORD_0 src1_sel:DWORD
	v_lshrrev_b32_e32 v23, 20, v23
	v_mul_lo_u16_e32 v25, 30, v23
	v_sub_u16_e32 v25, v51, v25
	v_mul_f32_e32 v69, v30, v84
	v_mul_f32_e32 v72, v28, v80
	v_lshlrev_b32_e32 v28, 2, v25
	v_lshlrev_b32_e32 v25, 5, v25
	v_fmac_f32_e32 v69, v76, v83
	v_fmac_f32_e32 v72, v85, v79
	global_load_dwordx4 v[83:86], v25, s[8:9] offset:176
	global_load_dwordx4 v[89:92], v25, s[8:9] offset:160
	v_fmac_f32_e32 v67, v95, v81
	v_fmac_f32_e32 v70, v97, v77
	v_sub_f32_e32 v30, v64, v62
	v_sub_f32_e32 v59, v62, v64
	s_waitcnt vmcnt(1)
	v_mul_f32_e32 v77, v24, v84
	s_waitcnt vmcnt(0)
	v_mul_f32_e32 v25, v96, v90
	v_fma_f32 v80, v26, v89, -v25
	s_waitcnt lgkmcnt(1)
	v_mul_f32_e32 v25, v105, v92
	v_fma_f32 v81, v16, v91, -v25
	v_mul_f32_e32 v76, v16, v92
	v_mul_f32_e32 v16, v98, v84
	v_fma_f32 v82, v24, v83, -v16
	s_waitcnt lgkmcnt(0)
	v_mul_f32_e32 v16, v107, v86
	v_fmac_f32_e32 v77, v98, v83
	v_fma_f32 v83, v14, v85, -v16
	v_mul_f32_e32 v79, v14, v86
	v_mul_u32_u24_sdwa v14, v50, s2 dst_sel:DWORD dst_unused:UNUSED_PAD src0_sel:WORD_0 src1_sel:DWORD
	v_lshrrev_b32_e32 v14, 20, v14
	v_mul_lo_u16_e32 v16, 30, v14
	v_sub_u16_e32 v16, v50, v16
	v_mul_f32_e32 v26, v26, v90
	v_lshlrev_b32_e32 v24, 2, v16
	v_lshlrev_b32_e32 v16, 5, v16
	v_fmac_f32_e32 v26, v96, v89
	global_load_dwordx4 v[95:98], v16, s[8:9] offset:176
	global_load_dwordx4 v[99:102], v16, s[8:9] offset:160
	v_fmac_f32_e32 v76, v105, v91
	v_sub_f32_e32 v25, v45, v61
	v_add_f32_e32 v25, v25, v30
	v_sub_f32_e32 v30, v61, v45
	v_add_f32_e32 v30, v30, v59
	v_fmac_f32_e32 v79, v107, v85
	v_sub_f32_e32 v84, v65, v66
	v_sub_f32_e32 v85, v71, v68
	v_add_f32_e32 v84, v84, v85
	v_sub_f32_e32 v85, v66, v65
	v_sub_f32_e32 v104, v82, v83
	s_waitcnt vmcnt(0)
	s_barrier
	v_mul_f32_e32 v90, v10, v96
	v_mul_f32_e32 v16, v93, v100
	v_fma_f32 v92, v12, v99, -v16
	v_mul_f32_e32 v86, v12, v100
	v_mul_f32_e32 v12, v106, v102
	v_fmac_f32_e32 v86, v93, v99
	v_fma_f32 v93, v17, v101, -v12
	v_mul_f32_e32 v12, v103, v96
	v_fma_f32 v94, v10, v95, -v12
	v_add_f32_e32 v12, v61, v62
	v_mul_f32_e32 v10, v108, v98
	v_fma_f32 v12, -0.5, v12, v6
	v_fmac_f32_e32 v90, v103, v95
	v_fma_f32 v95, v15, v97, -v10
	v_mul_f32_e32 v91, v15, v98
	v_sub_f32_e32 v15, v33, v44
	v_mov_b32_e32 v16, v12
	v_mul_f32_e32 v89, v17, v102
	v_fmac_f32_e32 v16, 0x3f737871, v15
	v_sub_f32_e32 v17, v42, v43
	v_fmac_f32_e32 v12, 0xbf737871, v15
	v_fmac_f32_e32 v16, 0x3f167918, v17
	;; [unrolled: 1-line block ×5, first 2 shown]
	v_add_f32_e32 v25, v45, v64
	v_add_f32_e32 v10, v6, v45
	v_fma_f32 v6, -0.5, v25, v6
	v_mov_b32_e32 v25, v6
	v_fmac_f32_e32 v25, 0xbf737871, v17
	v_fmac_f32_e32 v6, 0x3f737871, v17
	v_add_f32_e32 v17, v66, v68
	v_fmac_f32_e32 v25, 0x3f167918, v15
	v_fmac_f32_e32 v6, 0xbf167918, v15
	v_fma_f32 v17, -0.5, v17, v41
	v_fmac_f32_e32 v25, 0x3e9e377a, v30
	v_fmac_f32_e32 v6, 0x3e9e377a, v30
	v_sub_f32_e32 v30, v34, v27
	v_mov_b32_e32 v59, v17
	v_fmac_f32_e32 v59, 0x3f737871, v30
	v_fmac_f32_e32 v17, 0xbf737871, v30
	;; [unrolled: 1-line block ×6, first 2 shown]
	v_add_f32_e32 v84, v65, v71
	v_add_f32_e32 v15, v41, v65
	v_fmac_f32_e32 v41, -0.5, v84
	v_mov_b32_e32 v84, v41
	v_fmac_f32_e32 v84, 0xbf737871, v60
	v_sub_f32_e32 v96, v68, v71
	v_fmac_f32_e32 v41, 0x3f737871, v60
	v_fmac_f32_e32 v84, 0x3f167918, v30
	v_add_f32_e32 v85, v85, v96
	v_fmac_f32_e32 v41, 0xbf167918, v30
	v_add_f32_e32 v60, v74, v75
	v_fmac_f32_e32 v84, 0x3e9e377a, v85
	v_fmac_f32_e32 v41, 0x3e9e377a, v85
	v_fma_f32 v85, -0.5, v60, v7
	v_sub_f32_e32 v60, v67, v72
	v_mov_b32_e32 v98, v85
	v_fmac_f32_e32 v91, v108, v97
	v_fmac_f32_e32 v98, 0x3f737871, v60
	v_sub_f32_e32 v96, v69, v70
	v_sub_f32_e32 v97, v73, v74
	;; [unrolled: 1-line block ×3, first 2 shown]
	v_fmac_f32_e32 v85, 0xbf737871, v60
	v_fmac_f32_e32 v98, 0x3f167918, v96
	v_add_f32_e32 v97, v97, v99
	v_fmac_f32_e32 v85, 0xbf167918, v96
	v_fmac_f32_e32 v98, 0x3e9e377a, v97
	;; [unrolled: 1-line block ×3, first 2 shown]
	v_add_f32_e32 v97, v73, v78
	v_add_f32_e32 v30, v7, v73
	v_fmac_f32_e32 v7, -0.5, v97
	v_mov_b32_e32 v99, v7
	v_fmac_f32_e32 v99, 0xbf737871, v96
	v_fmac_f32_e32 v7, 0x3f737871, v96
	;; [unrolled: 1-line block ×4, first 2 shown]
	v_add_f32_e32 v60, v8, v80
	v_add_f32_e32 v60, v60, v81
	v_sub_f32_e32 v97, v74, v73
	v_sub_f32_e32 v100, v75, v78
	v_add_f32_e32 v60, v60, v82
	v_add_f32_e32 v97, v97, v100
	;; [unrolled: 1-line block ×4, first 2 shown]
	v_fmac_f32_e32 v89, v106, v101
	v_fma_f32 v101, -0.5, v60, v8
	v_sub_f32_e32 v60, v26, v79
	v_mov_b32_e32 v102, v101
	v_fmac_f32_e32 v99, 0x3e9e377a, v97
	v_fmac_f32_e32 v7, 0x3e9e377a, v97
	;; [unrolled: 1-line block ×3, first 2 shown]
	v_sub_f32_e32 v96, v76, v77
	v_sub_f32_e32 v97, v80, v81
	;; [unrolled: 1-line block ×3, first 2 shown]
	v_fmac_f32_e32 v101, 0xbf737871, v60
	v_fmac_f32_e32 v102, 0x3f167918, v96
	v_add_f32_e32 v97, v97, v103
	v_fmac_f32_e32 v101, 0xbf167918, v96
	v_fmac_f32_e32 v102, 0x3e9e377a, v97
	;; [unrolled: 1-line block ×3, first 2 shown]
	v_add_f32_e32 v97, v80, v83
	v_fma_f32 v8, -0.5, v97, v8
	v_mov_b32_e32 v103, v8
	v_fmac_f32_e32 v103, 0xbf737871, v96
	v_fmac_f32_e32 v8, 0x3f737871, v96
	;; [unrolled: 1-line block ×4, first 2 shown]
	v_add_f32_e32 v60, v9, v92
	v_add_f32_e32 v60, v60, v93
	v_sub_f32_e32 v97, v81, v80
	v_add_f32_e32 v60, v60, v94
	v_add_f32_e32 v97, v97, v104
	;; [unrolled: 1-line block ×4, first 2 shown]
	v_fma_f32 v60, -0.5, v60, v9
	v_sub_f32_e32 v96, v86, v91
	v_mov_b32_e32 v105, v60
	v_fmac_f32_e32 v103, 0x3e9e377a, v97
	v_fmac_f32_e32 v8, 0x3e9e377a, v97
	;; [unrolled: 1-line block ×3, first 2 shown]
	v_sub_f32_e32 v97, v89, v90
	v_sub_f32_e32 v106, v92, v93
	;; [unrolled: 1-line block ×3, first 2 shown]
	v_fmac_f32_e32 v60, 0xbf737871, v96
	v_fmac_f32_e32 v105, 0x3f167918, v97
	v_add_f32_e32 v106, v106, v107
	v_fmac_f32_e32 v60, 0xbf167918, v97
	v_fmac_f32_e32 v105, 0x3e9e377a, v106
	;; [unrolled: 1-line block ×3, first 2 shown]
	v_add_f32_e32 v106, v92, v95
	v_fmac_f32_e32 v9, -0.5, v106
	v_add_f32_e32 v10, v10, v61
	v_mov_b32_e32 v106, v9
	v_add_f32_e32 v10, v10, v62
	v_fmac_f32_e32 v106, 0xbf737871, v97
	v_fmac_f32_e32 v9, 0x3f737871, v97
	v_add_f32_e32 v10, v10, v64
	v_add_f32_e32 v15, v15, v66
	v_fmac_f32_e32 v106, 0x3f167918, v96
	v_fmac_f32_e32 v9, 0xbf167918, v96
	v_add3_u32 v96, 0, v18, v22
	v_add_f32_e32 v15, v15, v68
	v_add_f32_e32 v30, v30, v74
	ds_write2_b32 v96, v10, v16 offset1:30
	ds_write2_b32 v96, v25, v6 offset0:60 offset1:90
	ds_write_b32 v96, v12 offset:480
	v_mul_u32_u24_e32 v6, 0x258, v11
	v_add_f32_e32 v15, v15, v71
	v_add_f32_e32 v30, v30, v75
	v_add3_u32 v97, 0, v6, v13
	v_mul_u32_u24_e32 v6, 0x258, v29
	v_add_f32_e32 v30, v30, v78
	ds_write2_b32 v97, v15, v59 offset1:30
	ds_write2_b32 v97, v84, v41 offset0:60 offset1:90
	ds_write_b32 v97, v17 offset:480
	v_add3_u32 v41, 0, v6, v31
	v_mul_u32_u24_e32 v6, 0x258, v23
	v_sub_f32_e32 v107, v93, v92
	v_sub_f32_e32 v108, v94, v95
	ds_write2_b32 v41, v30, v98 offset1:30
	ds_write2_b32 v41, v99, v7 offset0:60 offset1:90
	ds_write_b32 v41, v85 offset:480
	v_add3_u32 v98, 0, v6, v28
	v_mul_u32_u24_e32 v6, 0x258, v14
	v_add_f32_e32 v107, v107, v108
	v_add3_u32 v99, 0, v6, v24
	v_fmac_f32_e32 v106, 0x3e9e377a, v107
	v_fmac_f32_e32 v9, 0x3e9e377a, v107
	ds_write2_b32 v98, v100, v102 offset1:30
	ds_write2_b32 v98, v103, v8 offset0:60 offset1:90
	ds_write_b32 v98, v101 offset:480
	ds_write2_b32 v99, v104, v105 offset1:30
	ds_write2_b32 v99, v106, v9 offset0:60 offset1:90
	ds_write_b32 v99, v60 offset:480
	s_waitcnt lgkmcnt(0)
	s_barrier
	ds_read2_b32 v[10:11], v56 offset1:180
	ds_read2_b32 v[6:7], v40 offset0:118 offset1:238
	ds_read2_b32 v[14:15], v38 offset0:100 offset1:220
	ds_read_b32 v84, v54
	ds_read2_b32 v[30:31], v35 offset0:72 offset1:162
	v_add_u32_e32 v38, 0x1800, v56
	ds_read2_b32 v[28:29], v38 offset0:54 offset1:144
	ds_read2_b32 v[12:13], v39 offset0:14 offset1:104
	;; [unrolled: 1-line block ×5, first 2 shown]
	v_add_u32_e32 v35, 0x1200, v56
	ds_read2_b32 v[18:19], v35 offset0:48 offset1:138
	ds_read2_b32 v[16:17], v36 offset0:158 offset1:248
	ds_read_b32 v85, v56 offset:8520
	v_lshl_add_u32 v59, v87, 2, 0
	s_and_saveexec_b64 s[2:3], s[0:1]
	s_cbranch_execz .LBB0_29
; %bb.28:
	ds_read_b32 v55, v56 offset:5880
	ds_read_b32 v60, v59 offset:2880
	;; [unrolled: 1-line block ×3, first 2 shown]
.LBB0_29:
	s_or_b64 exec, exec, s[2:3]
	v_add_f32_e32 v36, v42, v43
	v_fma_f32 v36, -0.5, v36, v2
	v_sub_f32_e32 v37, v45, v64
	v_mov_b32_e32 v39, v36
	v_fmac_f32_e32 v39, 0xbf737871, v37
	v_sub_f32_e32 v40, v61, v62
	v_sub_f32_e32 v45, v33, v42
	;; [unrolled: 1-line block ×3, first 2 shown]
	v_fmac_f32_e32 v36, 0x3f737871, v37
	v_fmac_f32_e32 v39, 0xbf167918, v40
	v_add_f32_e32 v45, v45, v61
	v_fmac_f32_e32 v36, 0x3f167918, v40
	v_fmac_f32_e32 v39, 0x3e9e377a, v45
	;; [unrolled: 1-line block ×3, first 2 shown]
	v_add_f32_e32 v45, v33, v44
	v_add_f32_e32 v21, v2, v33
	v_fma_f32 v2, -0.5, v45, v2
	v_mov_b32_e32 v45, v2
	v_fmac_f32_e32 v45, 0x3f737871, v40
	v_fmac_f32_e32 v2, 0xbf737871, v40
	;; [unrolled: 1-line block ×4, first 2 shown]
	v_add_f32_e32 v37, v63, v32
	v_add_f32_e32 v21, v21, v42
	v_sub_f32_e32 v33, v42, v33
	v_sub_f32_e32 v42, v43, v44
	v_fma_f32 v37, -0.5, v37, v20
	v_add_f32_e32 v21, v21, v43
	v_add_f32_e32 v33, v33, v42
	v_sub_f32_e32 v40, v65, v71
	v_mov_b32_e32 v42, v37
	v_add_f32_e32 v21, v21, v44
	v_fmac_f32_e32 v42, 0xbf737871, v40
	v_sub_f32_e32 v43, v66, v68
	v_sub_f32_e32 v44, v34, v63
	v_sub_f32_e32 v61, v27, v32
	v_fmac_f32_e32 v37, 0x3f737871, v40
	v_fmac_f32_e32 v45, 0x3e9e377a, v33
	;; [unrolled: 1-line block ×3, first 2 shown]
	v_add_f32_e32 v33, v20, v34
	v_fmac_f32_e32 v42, 0xbf167918, v43
	v_add_f32_e32 v44, v44, v61
	v_fmac_f32_e32 v37, 0x3f167918, v43
	;; [unrolled: 2-line block ×3, first 2 shown]
	v_fmac_f32_e32 v37, 0x3e9e377a, v44
	v_add_f32_e32 v44, v34, v27
	v_add_f32_e32 v33, v33, v32
	v_fmac_f32_e32 v20, -0.5, v44
	v_add_f32_e32 v33, v33, v27
	v_mov_b32_e32 v44, v20
	v_sub_f32_e32 v27, v32, v27
	v_add_f32_e32 v32, v69, v70
	v_fmac_f32_e32 v44, 0x3f737871, v43
	v_sub_f32_e32 v34, v63, v34
	v_fmac_f32_e32 v20, 0xbf737871, v43
	v_fma_f32 v32, -0.5, v32, v3
	v_fmac_f32_e32 v44, 0xbf167918, v40
	v_add_f32_e32 v27, v34, v27
	v_fmac_f32_e32 v20, 0x3f167918, v40
	v_sub_f32_e32 v34, v73, v78
	v_mov_b32_e32 v40, v32
	v_fmac_f32_e32 v40, 0xbf737871, v34
	v_sub_f32_e32 v43, v74, v75
	v_sub_f32_e32 v61, v67, v69
	;; [unrolled: 1-line block ×3, first 2 shown]
	v_fmac_f32_e32 v32, 0x3f737871, v34
	v_fmac_f32_e32 v40, 0xbf167918, v43
	v_add_f32_e32 v61, v61, v62
	v_fmac_f32_e32 v32, 0x3f167918, v43
	v_fmac_f32_e32 v40, 0x3e9e377a, v61
	;; [unrolled: 1-line block ×3, first 2 shown]
	v_add_f32_e32 v61, v67, v72
	v_fmac_f32_e32 v44, 0x3e9e377a, v27
	v_fmac_f32_e32 v20, 0x3e9e377a, v27
	v_add_f32_e32 v27, v3, v67
	v_fmac_f32_e32 v3, -0.5, v61
	v_mov_b32_e32 v62, v3
	v_fmac_f32_e32 v62, 0x3f737871, v43
	v_sub_f32_e32 v61, v69, v67
	v_sub_f32_e32 v63, v70, v72
	v_fmac_f32_e32 v3, 0xbf737871, v43
	v_add_f32_e32 v43, v76, v77
	v_fmac_f32_e32 v62, 0xbf167918, v34
	v_add_f32_e32 v61, v61, v63
	v_fmac_f32_e32 v3, 0x3f167918, v34
	v_fma_f32 v43, -0.5, v43, v4
	v_fmac_f32_e32 v62, 0x3e9e377a, v61
	v_fmac_f32_e32 v3, 0x3e9e377a, v61
	v_sub_f32_e32 v61, v80, v83
	v_mov_b32_e32 v63, v43
	v_fmac_f32_e32 v63, 0xbf737871, v61
	v_sub_f32_e32 v64, v81, v82
	v_sub_f32_e32 v65, v26, v76
	;; [unrolled: 1-line block ×3, first 2 shown]
	v_fmac_f32_e32 v43, 0x3f737871, v61
	v_fmac_f32_e32 v63, 0xbf167918, v64
	v_add_f32_e32 v65, v65, v66
	v_fmac_f32_e32 v43, 0x3f167918, v64
	v_fmac_f32_e32 v63, 0x3e9e377a, v65
	;; [unrolled: 1-line block ×3, first 2 shown]
	v_add_f32_e32 v65, v26, v79
	v_add_f32_e32 v34, v4, v26
	v_fma_f32 v4, -0.5, v65, v4
	v_mov_b32_e32 v65, v4
	v_fmac_f32_e32 v65, 0x3f737871, v64
	v_fmac_f32_e32 v4, 0xbf737871, v64
	;; [unrolled: 1-line block ×4, first 2 shown]
	v_add_f32_e32 v61, v89, v90
	v_sub_f32_e32 v26, v76, v26
	v_sub_f32_e32 v66, v77, v79
	v_fma_f32 v61, -0.5, v61, v5
	v_add_f32_e32 v26, v26, v66
	v_sub_f32_e32 v64, v92, v95
	v_mov_b32_e32 v66, v61
	v_add_f32_e32 v27, v27, v69
	v_fmac_f32_e32 v66, 0xbf737871, v64
	v_sub_f32_e32 v67, v93, v94
	v_sub_f32_e32 v68, v86, v89
	;; [unrolled: 1-line block ×3, first 2 shown]
	v_fmac_f32_e32 v61, 0x3f737871, v64
	v_fmac_f32_e32 v66, 0xbf167918, v67
	v_add_f32_e32 v68, v68, v69
	v_fmac_f32_e32 v61, 0x3f167918, v67
	v_fmac_f32_e32 v66, 0x3e9e377a, v68
	v_fmac_f32_e32 v61, 0x3e9e377a, v68
	v_add_f32_e32 v68, v86, v91
	v_fmac_f32_e32 v65, 0x3e9e377a, v26
	v_fmac_f32_e32 v4, 0x3e9e377a, v26
	v_add_f32_e32 v26, v5, v86
	v_fmac_f32_e32 v5, -0.5, v68
	v_mov_b32_e32 v68, v5
	v_add_f32_e32 v27, v27, v70
	v_add_f32_e32 v34, v34, v76
	;; [unrolled: 1-line block ×3, first 2 shown]
	v_fmac_f32_e32 v68, 0x3f737871, v67
	v_sub_f32_e32 v69, v89, v86
	v_sub_f32_e32 v70, v90, v91
	v_fmac_f32_e32 v5, 0xbf737871, v67
	v_add_f32_e32 v34, v34, v77
	v_add_f32_e32 v26, v26, v90
	v_fmac_f32_e32 v68, 0xbf167918, v64
	v_add_f32_e32 v69, v69, v70
	v_fmac_f32_e32 v5, 0x3f167918, v64
	v_add_f32_e32 v27, v27, v72
	v_add_f32_e32 v34, v34, v79
	v_add_f32_e32 v26, v26, v91
	v_fmac_f32_e32 v68, 0x3e9e377a, v69
	v_fmac_f32_e32 v5, 0x3e9e377a, v69
	s_waitcnt lgkmcnt(0)
	s_barrier
	ds_write2_b32 v96, v21, v39 offset1:30
	ds_write2_b32 v96, v45, v2 offset0:60 offset1:90
	ds_write_b32 v96, v36 offset:480
	ds_write2_b32 v97, v33, v42 offset1:30
	ds_write2_b32 v97, v44, v20 offset0:60 offset1:90
	ds_write_b32 v97, v37 offset:480
	ds_write2_b32 v41, v27, v40 offset1:30
	ds_write2_b32 v41, v62, v3 offset0:60 offset1:90
	ds_write_b32 v41, v32 offset:480
	ds_write2_b32 v98, v34, v63 offset1:30
	ds_write2_b32 v98, v65, v4 offset0:60 offset1:90
	ds_write_b32 v98, v43 offset:480
	ds_write2_b32 v99, v26, v66 offset1:30
	ds_write2_b32 v99, v68, v5 offset0:60 offset1:90
	ds_write_b32 v99, v61 offset:480
	v_add_u32_e32 v20, 0x1400, v56
	s_waitcnt lgkmcnt(0)
	s_barrier
	v_add_u32_e32 v2, 0x800, v56
	ds_read2_b32 v[32:33], v20 offset0:100 offset1:220
	v_add_u32_e32 v20, 0xc00, v56
	v_add_u32_e32 v26, 0xe00, v56
	ds_read2_b32 v[4:5], v56 offset1:180
	ds_read2_b32 v[2:3], v2 offset0:118 offset1:238
	ds_read2_b32 v[44:45], v20 offset0:72 offset1:162
	;; [unrolled: 1-line block ×4, first 2 shown]
	v_add_u32_e32 v26, 0x1a00, v56
	v_add_u32_e32 v20, 0x400, v56
	ds_read2_b32 v[38:39], v26 offset0:106 offset1:196
	v_add_u32_e32 v26, 0x600, v56
	v_add_u32_e32 v34, 0x1c00, v56
	ds_read2_b32 v[20:21], v20 offset0:14 offset1:104
	ds_read2_b32 v[26:27], v26 offset0:66 offset1:156
	;; [unrolled: 1-line block ×4, first 2 shown]
	ds_read_b32 v62, v54
	ds_read_b32 v63, v56 offset:8520
	s_and_saveexec_b64 s[2:3], s[0:1]
	s_cbranch_execz .LBB0_31
; %bb.30:
	ds_read_b32 v58, v56 offset:5880
	ds_read_b32 v61, v59 offset:2880
	;; [unrolled: 1-line block ×3, first 2 shown]
.LBB0_31:
	s_or_b64 exec, exec, s[2:3]
	v_lshlrev_b32_e32 v68, 1, v87
	v_mov_b32_e32 v69, 0
	v_lshlrev_b64 v[64:65], 3, v[68:69]
	v_mov_b32_e32 v77, s9
	v_add_co_u32_e64 v64, s[2:3], s8, v64
	v_addc_co_u32_e64 v65, s[2:3], v77, v65, s[2:3]
	v_subrev_u32_e32 v70, 60, v87
	v_cmp_gt_u32_e64 s[2:3], 60, v87
	v_add_u32_e32 v68, 60, v68
	v_cndmask_b32_e64 v83, v70, v88, s[2:3]
	v_mov_b32_e32 v71, v69
	v_lshlrev_b64 v[68:69], 3, v[68:69]
	v_lshlrev_b32_e32 v70, 1, v83
	v_lshlrev_b64 v[75:76], 3, v[70:71]
	v_add_co_u32_e64 v68, s[2:3], s8, v68
	v_addc_co_u32_e64 v69, s[2:3], v77, v69, s[2:3]
	global_load_dwordx4 v[71:74], v[68:69], off offset:1120
	v_add_co_u32_e64 v68, s[2:3], s8, v75
	v_addc_co_u32_e64 v69, s[2:3], v77, v76, s[2:3]
	global_load_dwordx4 v[75:78], v[68:69], off offset:1120
	v_lshrrev_b16_e32 v68, 1, v51
	v_mul_u32_u24_e32 v68, 0xda75, v68
	v_lshrrev_b32_e32 v86, 22, v68
	v_mul_lo_u16_e32 v68, 0x96, v86
	v_sub_u16_e32 v109, v51, v68
	v_lshlrev_b32_e32 v68, 4, v109
	global_load_dwordx4 v[79:82], v68, s[8:9] offset:1120
	v_lshrrev_b16_e32 v68, 1, v50
	v_mul_u32_u24_e32 v68, 0xda75, v68
	v_lshrrev_b32_e32 v68, 22, v68
	v_mul_lo_u16_e32 v68, 0x96, v68
	v_sub_u16_e32 v110, v50, v68
	v_lshlrev_b32_e32 v68, 4, v110
	global_load_dwordx4 v[89:92], v68, s[8:9] offset:1120
	;; [unrolled: 7-line block ×3, first 2 shown]
	v_lshrrev_b16_e32 v68, 1, v52
	v_mul_u32_u24_e32 v68, 0xda75, v68
	v_lshrrev_b32_e32 v112, 22, v68
	v_mul_lo_u16_e32 v68, 0x96, v112
	v_sub_u16_e32 v113, v52, v68
	v_lshlrev_b32_e32 v68, 4, v113
	global_load_dwordx4 v[64:67], v[64:65], off offset:1120
	v_cmp_lt_u32_e64 s[2:3], 59, v87
	global_load_dwordx4 v[97:100], v68, s[8:9] offset:1120
	v_lshrrev_b16_e32 v68, 1, v46
	v_mul_u32_u24_e32 v68, 0xda75, v68
	v_lshrrev_b32_e32 v68, 22, v68
	v_mul_lo_u16_e32 v68, 0x96, v68
	v_sub_u16_e32 v114, v46, v68
	v_lshlrev_b32_e32 v46, 4, v114
	global_load_dwordx4 v[101:104], v46, s[8:9] offset:1120
	v_lshrrev_b16_e32 v46, 1, v47
	v_mul_u32_u24_e32 v46, 0xda75, v46
	v_lshrrev_b32_e32 v46, 22, v46
	v_mul_lo_u16_e32 v46, 0x96, v46
	v_sub_u16_e32 v115, v47, v46
	v_lshlrev_b32_e32 v46, 4, v115
	global_load_dwordx4 v[105:108], v46, s[8:9] offset:1120
	s_waitcnt vmcnt(0) lgkmcnt(0)
	s_barrier
	v_mul_f32_e32 v69, v28, v78
	v_fmac_f32_e32 v69, v42, v77
	v_mul_f32_e32 v46, v7, v65
	v_mul_f32_e32 v47, v3, v65
	;; [unrolled: 1-line block ×3, first 2 shown]
	v_fmac_f32_e32 v46, v3, v64
	v_mul_f32_e32 v3, v45, v72
	v_mul_f32_e32 v68, v33, v67
	v_fma_f32 v47, v7, v64, -v47
	v_fmac_f32_e32 v65, v33, v66
	v_mul_f32_e32 v33, v31, v72
	v_mul_f32_e32 v64, v30, v76
	v_fma_f32 v31, v31, v71, -v3
	v_mul_f32_e32 v3, v43, v74
	v_fma_f32 v68, v15, v66, -v68
	v_mul_f32_e32 v7, v44, v76
	v_mul_f32_e32 v15, v42, v78
	v_fmac_f32_e32 v64, v44, v75
	v_fma_f32 v44, v29, v73, -v3
	v_mul_f32_e32 v3, v40, v80
	v_fma_f32 v70, v28, v77, -v15
	v_mul_f32_e32 v67, v29, v74
	;; [unrolled: 2-line block ×3, first 2 shown]
	v_fmac_f32_e32 v67, v43, v73
	v_fma_f32 v43, v22, v81, -v3
	v_mul_f32_e32 v3, v41, v90
	v_fmac_f32_e32 v33, v45, v71
	v_mul_f32_e32 v42, v24, v80
	v_mul_f32_e32 v45, v22, v82
	v_fma_f32 v24, v25, v89, -v3
	v_mul_f32_e32 v3, v39, v92
	v_fmac_f32_e32 v42, v40, v79
	v_fmac_f32_e32 v45, v38, v81
	v_mul_f32_e32 v38, v25, v90
	v_fma_f32 v40, v23, v91, -v3
	v_mul_f32_e32 v3, v36, v94
	v_fmac_f32_e32 v38, v41, v89
	v_mul_f32_e32 v41, v23, v92
	v_fma_f32 v23, v18, v93, -v3
	v_mul_f32_e32 v3, v34, v96
	v_fma_f32 v66, v30, v75, -v7
	;; [unrolled: 2-line block ×3, first 2 shown]
	v_mul_f32_e32 v3, v37, v98
	v_fmac_f32_e32 v29, v36, v93
	v_mul_f32_e32 v36, v16, v96
	v_fma_f32 v18, v19, v97, -v3
	v_mul_f32_e32 v19, v19, v98
	v_fmac_f32_e32 v36, v34, v95
	v_fmac_f32_e32 v19, v37, v97
	v_mul_f32_e32 v3, v35, v100
	v_mul_f32_e32 v34, v17, v100
	v_add_f32_e32 v37, v47, v68
	v_fma_f32 v25, v17, v99, -v3
	v_fmac_f32_e32 v34, v35, v99
	v_mul_f32_e32 v3, v32, v102
	v_mul_f32_e32 v16, v57, v108
	v_add_f32_e32 v35, v10, v47
	v_fma_f32 v10, -0.5, v37, v10
	v_fmac_f32_e32 v41, v39, v91
	v_fma_f32 v15, v14, v101, -v3
	v_mul_f32_e32 v3, v63, v104
	v_fma_f32 v16, v48, v107, -v16
	v_mul_f32_e32 v22, v48, v108
	v_sub_f32_e32 v37, v46, v65
	v_mov_b32_e32 v39, v10
	v_add_f32_e32 v48, v66, v70
	v_fma_f32 v17, v85, v103, -v3
	v_mul_f32_e32 v3, v58, v106
	v_fmac_f32_e32 v39, 0x3f5db3d7, v37
	v_fmac_f32_e32 v10, 0xbf5db3d7, v37
	v_add_f32_e32 v37, v84, v66
	v_fmac_f32_e32 v84, -0.5, v48
	v_mul_f32_e32 v14, v14, v102
	v_fma_f32 v3, v55, v105, -v3
	v_mul_f32_e32 v7, v55, v106
	v_fmac_f32_e32 v22, v57, v107
	v_sub_f32_e32 v48, v64, v69
	v_mov_b32_e32 v55, v84
	v_add_f32_e32 v57, v31, v44
	v_fmac_f32_e32 v14, v32, v101
	v_mul_f32_e32 v32, v85, v104
	v_fmac_f32_e32 v55, 0x3f5db3d7, v48
	v_fmac_f32_e32 v84, 0xbf5db3d7, v48
	v_add_f32_e32 v48, v11, v31
	v_fmac_f32_e32 v11, -0.5, v57
	v_fmac_f32_e32 v32, v63, v103
	v_fmac_f32_e32 v7, v58, v105
	v_sub_f32_e32 v57, v33, v67
	v_mov_b32_e32 v58, v11
	v_add_f32_e32 v63, v28, v43
	v_fmac_f32_e32 v58, 0x3f5db3d7, v57
	v_fmac_f32_e32 v11, 0xbf5db3d7, v57
	v_add_f32_e32 v57, v12, v28
	v_fma_f32 v12, -0.5, v63, v12
	v_sub_f32_e32 v63, v42, v45
	v_mov_b32_e32 v71, v12
	v_add_f32_e32 v72, v24, v40
	v_fmac_f32_e32 v71, 0x3f5db3d7, v63
	v_fmac_f32_e32 v12, 0xbf5db3d7, v63
	v_add_f32_e32 v63, v13, v24
	v_fmac_f32_e32 v13, -0.5, v72
	v_add_f32_e32 v74, v23, v30
	v_sub_f32_e32 v72, v38, v41
	v_mov_b32_e32 v73, v13
	v_fma_f32 v74, -0.5, v74, v8
	v_fmac_f32_e32 v73, 0x3f5db3d7, v72
	v_fmac_f32_e32 v13, 0xbf5db3d7, v72
	v_add_f32_e32 v72, v8, v23
	v_sub_f32_e32 v8, v29, v36
	v_mov_b32_e32 v75, v74
	v_fmac_f32_e32 v75, 0x3f5db3d7, v8
	v_fmac_f32_e32 v74, 0xbf5db3d7, v8
	v_add_f32_e32 v8, v9, v18
	v_add_f32_e32 v76, v8, v25
	;; [unrolled: 1-line block ×3, first 2 shown]
	v_fmac_f32_e32 v9, -0.5, v8
	v_sub_f32_e32 v8, v19, v34
	v_mov_b32_e32 v77, v9
	v_fmac_f32_e32 v77, 0x3f5db3d7, v8
	v_fmac_f32_e32 v9, 0xbf5db3d7, v8
	v_add_f32_e32 v8, v6, v15
	v_add_f32_e32 v78, v8, v17
	;; [unrolled: 1-line block ×3, first 2 shown]
	v_fmac_f32_e32 v6, -0.5, v8
	v_sub_f32_e32 v8, v14, v32
	v_mov_b32_e32 v79, v6
	v_add_f32_e32 v35, v35, v68
	v_fmac_f32_e32 v79, 0x3f5db3d7, v8
	v_fmac_f32_e32 v6, 0xbf5db3d7, v8
	v_mov_b32_e32 v8, 0x708
	ds_write2_b32 v56, v35, v39 offset1:150
	ds_write_b32 v56, v10 offset:1200
	v_cndmask_b32_e64 v8, 0, v8, s[2:3]
	v_lshlrev_b32_e32 v10, 2, v83
	v_add_f32_e32 v37, v37, v70
	v_add_f32_e32 v48, v48, v44
	v_add3_u32 v8, 0, v8, v10
	v_add_u32_e32 v10, 0x600, v59
	ds_write2_b32 v8, v37, v55 offset1:150
	ds_write_b32 v8, v84 offset:1200
	ds_write2_b32 v10, v48, v58 offset0:96 offset1:246
	ds_write_b32 v59, v11 offset:3120
	v_mul_u32_u24_e32 v10, 0x708, v86
	v_lshlrev_b32_e32 v11, 2, v109
	v_add_f32_e32 v57, v57, v43
	v_add3_u32 v10, 0, v10, v11
	v_lshl_add_u32 v11, v110, 2, 0
	v_add_f32_e32 v63, v63, v40
	ds_write2_b32 v10, v57, v71 offset1:150
	ds_write_b32 v10, v12 offset:1200
	v_add_u32_e32 v12, 0xe00, v11
	v_lshl_add_u32 v35, v111, 2, 0
	v_add_f32_e32 v72, v72, v30
	ds_write2_b32 v12, v63, v73 offset0:4 offset1:154
	ds_write_b32 v11, v13 offset:4800
	v_add_u32_e32 v12, 0x1400, v35
	ds_write2_b32 v12, v72, v75 offset0:70 offset1:220
	ds_write_b32 v35, v74 offset:6600
	v_mul_u32_u24_e32 v12, 0x708, v112
	v_lshlrev_b32_e32 v13, 2, v113
	v_add3_u32 v37, 0, v12, v13
	ds_write2_b32 v37, v76, v77 offset1:150
	ds_write_b32 v37, v9 offset:1200
	v_lshl_add_u32 v9, v114, 2, 0
	v_add_u32_e32 v12, 0x1c00, v9
	ds_write2_b32 v12, v78, v79 offset0:8 offset1:158
	ds_write_b32 v9, v6 offset:8400
	v_lshl_add_u32 v6, v115, 2, 0
	s_and_saveexec_b64 s[2:3], s[0:1]
	s_cbranch_execz .LBB0_33
; %bb.32:
	v_add_f32_e32 v12, v3, v16
	v_fma_f32 v12, -0.5, v12, v60
	v_sub_f32_e32 v13, v7, v22
	v_mov_b32_e32 v39, v12
	v_fmac_f32_e32 v39, 0xbf5db3d7, v13
	v_fmac_f32_e32 v12, 0x3f5db3d7, v13
	v_add_f32_e32 v13, v60, v3
	v_add_f32_e32 v13, v13, v16
	v_add_u32_e32 v48, 0x1c00, v6
	ds_write2_b32 v48, v13, v12 offset0:8 offset1:158
	ds_write_b32 v6, v39 offset:8400
.LBB0_33:
	s_or_b64 exec, exec, s[2:3]
	v_add_f32_e32 v12, v4, v46
	v_add_f32_e32 v39, v12, v65
	;; [unrolled: 1-line block ×3, first 2 shown]
	v_fma_f32 v4, -0.5, v12, v4
	v_sub_f32_e32 v12, v47, v68
	v_mov_b32_e32 v47, v4
	v_fmac_f32_e32 v47, 0xbf5db3d7, v12
	v_fmac_f32_e32 v4, 0x3f5db3d7, v12
	v_add_f32_e32 v12, v62, v64
	v_add_f32_e32 v48, v12, v69
	;; [unrolled: 1-line block ×3, first 2 shown]
	v_fmac_f32_e32 v62, -0.5, v12
	v_sub_f32_e32 v12, v66, v70
	v_mov_b32_e32 v57, v62
	v_fmac_f32_e32 v57, 0xbf5db3d7, v12
	v_fmac_f32_e32 v62, 0x3f5db3d7, v12
	v_add_f32_e32 v12, v5, v33
	v_add_f32_e32 v58, v12, v67
	;; [unrolled: 1-line block ×3, first 2 shown]
	v_fmac_f32_e32 v5, -0.5, v12
	v_sub_f32_e32 v12, v31, v44
	v_mov_b32_e32 v60, v5
	v_fmac_f32_e32 v60, 0xbf5db3d7, v12
	v_fmac_f32_e32 v5, 0x3f5db3d7, v12
	v_add_f32_e32 v12, v20, v42
	v_add_f32_e32 v63, v12, v45
	;; [unrolled: 1-line block ×3, first 2 shown]
	v_fma_f32 v64, -0.5, v12, v20
	v_sub_f32_e32 v12, v28, v43
	v_mov_b32_e32 v28, v64
	v_fmac_f32_e32 v28, 0xbf5db3d7, v12
	v_fmac_f32_e32 v64, 0x3f5db3d7, v12
	v_add_f32_e32 v12, v21, v38
	v_add_f32_e32 v65, v12, v41
	v_add_f32_e32 v12, v38, v41
	v_fmac_f32_e32 v21, -0.5, v12
	v_sub_f32_e32 v12, v24, v40
	v_mov_b32_e32 v38, v21
	v_fmac_f32_e32 v38, 0xbf5db3d7, v12
	v_fmac_f32_e32 v21, 0x3f5db3d7, v12
	v_add_f32_e32 v12, v26, v29
	v_add_f32_e32 v40, v12, v36
	;; [unrolled: 1-line block ×3, first 2 shown]
	v_fma_f32 v36, -0.5, v12, v26
	v_sub_f32_e32 v12, v23, v30
	v_mov_b32_e32 v66, v36
	v_fmac_f32_e32 v66, 0xbf5db3d7, v12
	v_fmac_f32_e32 v36, 0x3f5db3d7, v12
	v_add_f32_e32 v12, v27, v19
	v_add_f32_e32 v67, v12, v34
	;; [unrolled: 1-line block ×3, first 2 shown]
	v_fmac_f32_e32 v27, -0.5, v12
	v_sub_f32_e32 v12, v18, v25
	v_mov_b32_e32 v68, v27
	v_fmac_f32_e32 v68, 0xbf5db3d7, v12
	v_fmac_f32_e32 v27, 0x3f5db3d7, v12
	v_add_f32_e32 v12, v2, v14
	v_add_f32_e32 v69, v12, v32
	;; [unrolled: 1-line block ×3, first 2 shown]
	v_add_u32_e32 v14, 0x600, v56
	s_waitcnt lgkmcnt(0)
	s_barrier
	ds_read2_b32 v[23:24], v14 offset0:66 offset1:156
	v_add_u32_e32 v14, 0xc00, v56
	v_fmac_f32_e32 v2, -0.5, v12
	v_sub_f32_e32 v12, v15, v17
	ds_read2_b32 v[17:18], v14 offset0:42 offset1:132
	v_add_u32_e32 v14, 0x1400, v56
	v_mov_b32_e32 v70, v2
	ds_read2_b32 v[19:20], v14 offset0:70 offset1:160
	v_add_u32_e32 v14, 0x1a00, v56
	v_fmac_f32_e32 v70, 0xbf5db3d7, v12
	v_fmac_f32_e32 v2, 0x3f5db3d7, v12
	ds_read2_b32 v[12:13], v56 offset1:180
	ds_read2_b32 v[25:26], v14 offset0:46 offset1:136
	ds_read_b32 v55, v54
	v_add_u32_e32 v14, 0xe00, v56
	ds_read2_b32 v[31:32], v14 offset0:94 offset1:184
	v_add_u32_e32 v14, 0x1c00, v56
	ds_read2_b32 v[33:34], v14 offset0:98 offset1:188
	;; [unrolled: 2-line block ×5, first 2 shown]
	v_add_u32_e32 v14, 0x1000, v56
	v_add_u32_e32 v45, 0x2000, v56
	ds_read2_b32 v[14:15], v14 offset0:146 offset1:236
	ds_read2_b32 v[45:46], v45 offset0:22 offset1:112
	s_waitcnt lgkmcnt(0)
	s_barrier
	ds_write2_b32 v56, v39, v47 offset1:150
	ds_write_b32 v56, v4 offset:1200
	ds_write2_b32 v8, v48, v57 offset1:150
	ds_write_b32 v8, v62 offset:1200
	v_add_u32_e32 v4, 0x600, v59
	ds_write2_b32 v4, v58, v60 offset0:96 offset1:246
	ds_write_b32 v59, v5 offset:3120
	ds_write2_b32 v10, v63, v28 offset1:150
	ds_write_b32 v10, v64 offset:1200
	v_add_u32_e32 v4, 0xe00, v11
	ds_write2_b32 v4, v65, v38 offset0:4 offset1:154
	ds_write_b32 v11, v21 offset:4800
	v_add_u32_e32 v4, 0x1400, v35
	ds_write2_b32 v4, v40, v66 offset0:70 offset1:220
	ds_write_b32 v35, v36 offset:6600
	ds_write2_b32 v37, v67, v68 offset1:150
	ds_write_b32 v37, v27 offset:1200
	v_add_u32_e32 v4, 0x1c00, v9
	ds_write2_b32 v4, v69, v70 offset0:8 offset1:158
	ds_write_b32 v9, v2 offset:8400
	s_and_saveexec_b64 s[2:3], s[0:1]
	s_cbranch_execz .LBB0_35
; %bb.34:
	v_add_f32_e32 v4, v7, v22
	v_add_f32_e32 v2, v61, v7
	v_fmac_f32_e32 v61, -0.5, v4
	v_sub_f32_e32 v3, v3, v16
	v_mov_b32_e32 v4, v61
	v_add_f32_e32 v2, v2, v22
	v_fmac_f32_e32 v4, 0xbf5db3d7, v3
	v_fmac_f32_e32 v61, 0x3f5db3d7, v3
	v_add_u32_e32 v3, 0x1c00, v6
	ds_write2_b32 v3, v2, v4 offset0:8 offset1:158
	ds_write_b32 v6, v61 offset:8400
.LBB0_35:
	s_or_b64 exec, exec, s[2:3]
	s_waitcnt lgkmcnt(0)
	s_barrier
	s_and_saveexec_b64 s[0:1], vcc
	s_cbranch_execz .LBB0_37
; %bb.36:
	v_lshlrev_b32_e32 v37, 2, v50
	v_mov_b32_e32 v38, 0
	v_lshlrev_b64 v[2:3], 3, v[37:38]
	v_mov_b32_e32 v57, s9
	v_add_co_u32_e32 v10, vcc, s8, v2
	v_addc_co_u32_e32 v11, vcc, v57, v3, vcc
	global_load_dwordx4 v[2:5], v[10:11], off offset:3520
	global_load_dwordx4 v[6:9], v[10:11], off offset:3536
	v_add_u32_e32 v10, 0x1000, v56
	v_add_u32_e32 v11, 0xc00, v56
	v_lshlrev_b32_e32 v37, 2, v51
	ds_read2_b32 v[21:22], v10 offset0:146 offset1:236
	ds_read2_b32 v[35:36], v11 offset0:42 offset1:132
	v_lshlrev_b64 v[10:11], 3, v[37:38]
	v_add_u32_e32 v16, 0x1a00, v56
	v_add_co_u32_e32 v10, vcc, s8, v10
	v_addc_co_u32_e32 v11, vcc, v57, v11, vcc
	global_load_dwordx4 v[58:61], v[10:11], off offset:3536
	global_load_dwordx4 v[62:65], v[10:11], off offset:3520
	v_add_u32_e32 v27, 0x2000, v56
	v_add_u32_e32 v47, 0x400, v56
	ds_read2_b32 v[39:40], v16 offset0:46 offset1:136
	ds_read2_b32 v[27:28], v27 offset0:22 offset1:112
	;; [unrolled: 1-line block ×3, first 2 shown]
	s_waitcnt vmcnt(3) lgkmcnt(4)
	v_mul_f32_e32 v10, v4, v22
	s_waitcnt lgkmcnt(3)
	v_mul_f32_e32 v11, v2, v35
	s_waitcnt vmcnt(2) lgkmcnt(2)
	v_mul_f32_e32 v16, v6, v39
	s_waitcnt lgkmcnt(1)
	v_mul_f32_e32 v37, v8, v28
	v_mul_f32_e32 v35, v3, v35
	;; [unrolled: 1-line block ×5, first 2 shown]
	v_fmac_f32_e32 v10, v15, v5
	v_fmac_f32_e32 v11, v17, v3
	;; [unrolled: 1-line block ×4, first 2 shown]
	v_fma_f32 v17, v17, v2, -v35
	v_fma_f32 v28, v46, v8, -v28
	;; [unrolled: 1-line block ×4, first 2 shown]
	v_add_f32_e32 v4, v11, v37
	v_sub_f32_e32 v5, v11, v10
	v_sub_f32_e32 v6, v37, v16
	s_waitcnt lgkmcnt(0)
	v_add_f32_e32 v35, v11, v48
	v_add_f32_e32 v66, v17, v28
	v_sub_f32_e32 v2, v10, v11
	v_sub_f32_e32 v68, v11, v37
	;; [unrolled: 1-line block ×4, first 2 shown]
	v_fma_f32 v7, -0.5, v4, v48
	v_add_f32_e32 v71, v5, v6
	v_add_f32_e32 v4, v10, v35
	v_fma_f32 v6, -0.5, v66, v30
	v_sub_f32_e32 v67, v10, v16
	v_add_f32_e32 v35, v11, v69
	v_add_f32_e32 v11, v16, v4
	v_mov_b32_e32 v4, v6
	v_sub_f32_e32 v39, v15, v17
	v_sub_f32_e32 v46, v22, v28
	v_fmac_f32_e32 v6, 0xbf737871, v67
	v_fmac_f32_e32 v4, 0x3f737871, v67
	v_add_f32_e32 v9, v10, v16
	v_add_f32_e32 v10, v39, v46
	v_fmac_f32_e32 v6, 0x3f167918, v68
	v_fmac_f32_e32 v4, 0xbf167918, v68
	;; [unrolled: 1-line block ×4, first 2 shown]
	v_add_f32_e32 v10, v30, v17
	v_sub_f32_e32 v3, v16, v37
	v_sub_f32_e32 v25, v15, v22
	v_add_f32_e32 v70, v15, v22
	v_fma_f32 v9, -0.5, v9, v48
	v_mov_b32_e32 v5, v7
	v_add_f32_e32 v11, v37, v11
	v_add_f32_e32 v10, v15, v10
	v_add_u32_e32 v15, 0x800, v56
	v_lshlrev_b32_e32 v37, 2, v49
	v_sub_f32_e32 v8, v17, v28
	v_add_f32_e32 v2, v2, v3
	v_fmac_f32_e32 v7, 0x3f737871, v25
	v_mov_b32_e32 v3, v9
	v_fmac_f32_e32 v5, 0xbf737871, v25
	ds_read2_b32 v[74:75], v15 offset0:118 offset1:208
	v_lshlrev_b64 v[15:16], 3, v[37:38]
	v_fmac_f32_e32 v9, 0xbf737871, v8
	v_fmac_f32_e32 v7, 0xbf167918, v8
	;; [unrolled: 1-line block ×4, first 2 shown]
	v_fma_f32 v8, -0.5, v70, v30
	v_fmac_f32_e32 v7, 0x3e9e377a, v2
	v_fmac_f32_e32 v5, 0x3e9e377a, v2
	v_mov_b32_e32 v2, v8
	v_add_co_u32_e32 v15, vcc, s8, v15
	v_fmac_f32_e32 v9, 0xbf167918, v25
	v_fmac_f32_e32 v3, 0x3f167918, v25
	;; [unrolled: 1-line block ×4, first 2 shown]
	v_addc_co_u32_e32 v16, vcc, v57, v16, vcc
	v_fmac_f32_e32 v9, 0x3e9e377a, v71
	v_fmac_f32_e32 v3, 0x3e9e377a, v71
	;; [unrolled: 1-line block ×4, first 2 shown]
	global_load_dwordx4 v[66:69], v[15:16], off offset:3536
	global_load_dwordx4 v[70:73], v[15:16], off offset:3520
	v_add_u32_e32 v15, 0x1600, v56
	ds_read2_b32 v[76:77], v15 offset0:122 offset1:212
	v_fmac_f32_e32 v2, 0x3e9e377a, v35
	v_fmac_f32_e32 v8, 0x3e9e377a, v35
	s_waitcnt vmcnt(2)
	v_mul_f32_e32 v25, v64, v21
	s_waitcnt lgkmcnt(1)
	v_mul_f32_e32 v16, v62, v75
	s_waitcnt lgkmcnt(0)
	v_mul_f32_e32 v35, v58, v77
	v_mul_f32_e32 v37, v60, v27
	v_fmac_f32_e32 v25, v14, v65
	v_fmac_f32_e32 v16, v44, v63
	;; [unrolled: 1-line block ×4, first 2 shown]
	v_sub_f32_e32 v15, v25, v16
	v_sub_f32_e32 v17, v35, v37
	v_add_f32_e32 v17, v15, v17
	v_mul_f32_e32 v15, v63, v75
	v_fma_f32 v39, v44, v62, -v15
	v_mul_f32_e32 v15, v61, v27
	v_fma_f32 v44, v45, v60, -v15
	v_add_f32_e32 v15, v16, v37
	v_add_f32_e32 v10, v10, v22
	v_fma_f32 v22, -0.5, v15, v47
	v_mul_f32_e32 v15, v65, v21
	v_fma_f32 v45, v14, v64, -v15
	v_mul_f32_e32 v14, v59, v77
	v_fma_f32 v42, v42, v58, -v14
	v_sub_f32_e32 v14, v45, v42
	v_mov_b32_e32 v15, v22
	v_sub_f32_e32 v27, v39, v44
	v_fmac_f32_e32 v15, 0xbf737871, v14
	v_fmac_f32_e32 v22, 0x3f737871, v14
	;; [unrolled: 1-line block ×6, first 2 shown]
	v_sub_f32_e32 v17, v16, v25
	v_sub_f32_e32 v21, v37, v35
	v_add_f32_e32 v21, v17, v21
	v_add_f32_e32 v17, v25, v35
	;; [unrolled: 1-line block ×3, first 2 shown]
	v_fma_f32 v28, -0.5, v17, v47
	v_mov_b32_e32 v17, v28
	v_fmac_f32_e32 v17, 0x3f737871, v27
	v_fmac_f32_e32 v28, 0xbf737871, v27
	;; [unrolled: 1-line block ×4, first 2 shown]
	v_add_f32_e32 v14, v16, v47
	v_add_f32_e32 v14, v25, v14
	;; [unrolled: 1-line block ×3, first 2 shown]
	v_fmac_f32_e32 v17, 0x3e9e377a, v21
	v_fmac_f32_e32 v28, 0x3e9e377a, v21
	v_add_f32_e32 v30, v37, v14
	v_sub_f32_e32 v14, v45, v39
	v_sub_f32_e32 v21, v42, v44
	v_add_f32_e32 v27, v14, v21
	v_add_f32_e32 v14, v39, v44
	v_fma_f32 v21, -0.5, v14, v29
	v_sub_f32_e32 v25, v25, v35
	v_mov_b32_e32 v14, v21
	v_fmac_f32_e32 v14, 0x3f737871, v25
	v_sub_f32_e32 v35, v16, v37
	v_fmac_f32_e32 v21, 0xbf737871, v25
	v_fmac_f32_e32 v14, 0xbf167918, v35
	;; [unrolled: 1-line block ×5, first 2 shown]
	v_sub_f32_e32 v16, v39, v45
	v_sub_f32_e32 v27, v44, v42
	v_add_f32_e32 v37, v16, v27
	v_add_f32_e32 v16, v45, v42
	v_fma_f32 v27, -0.5, v16, v29
	v_mov_b32_e32 v16, v27
	v_fmac_f32_e32 v16, 0xbf737871, v35
	v_fmac_f32_e32 v27, 0x3f737871, v35
	;; [unrolled: 1-line block ×4, first 2 shown]
	v_add_u32_e32 v25, 0xe00, v56
	v_add_u32_e32 v35, 0x1c00, v56
	ds_read2_b32 v[77:78], v25 offset0:94 offset1:184
	v_add_f32_e32 v25, v29, v39
	ds_read2_b32 v[79:80], v35 offset0:98 offset1:188
	v_add_f32_e32 v25, v45, v25
	v_fmac_f32_e32 v16, 0x3e9e377a, v37
	v_fmac_f32_e32 v27, 0x3e9e377a, v37
	v_add_f32_e32 v25, v25, v42
	v_lshlrev_b32_e32 v37, 2, v88
	v_add_f32_e32 v29, v25, v44
	v_lshlrev_b64 v[44:45], 3, v[37:38]
	s_waitcnt vmcnt(0) lgkmcnt(1)
	v_mul_f32_e32 v25, v72, v78
	v_mul_f32_e32 v39, v70, v74
	;; [unrolled: 1-line block ×3, first 2 shown]
	s_waitcnt lgkmcnt(0)
	v_mul_f32_e32 v81, v68, v80
	v_add_co_u32_e32 v44, vcc, s8, v44
	v_fmac_f32_e32 v25, v32, v73
	v_fmac_f32_e32 v39, v43, v71
	;; [unrolled: 1-line block ×3, first 2 shown]
	v_addc_co_u32_e32 v45, vcc, v57, v45, vcc
	v_fmac_f32_e32 v81, v34, v69
	v_sub_f32_e32 v35, v25, v39
	global_load_dwordx4 v[58:61], v[44:45], off offset:3536
	global_load_dwordx4 v[62:65], v[44:45], off offset:3520
	v_sub_f32_e32 v37, v47, v81
	v_add_f32_e32 v35, v35, v37
	v_mul_f32_e32 v37, v71, v74
	ds_read2_b32 v[74:75], v56 offset1:180
	v_mul_f32_e32 v42, v69, v80
	v_fma_f32 v68, v34, v68, -v42
	v_add_f32_e32 v42, v39, v81
	v_fma_f32 v37, v43, v70, -v37
	s_waitcnt lgkmcnt(0)
	v_fma_f32 v44, -0.5, v42, v75
	v_mul_f32_e32 v42, v73, v78
	v_fma_f32 v32, v32, v72, -v42
	v_mul_f32_e32 v42, v67, v76
	v_fma_f32 v66, v41, v66, -v42
	v_sub_f32_e32 v41, v32, v66
	v_mov_b32_e32 v42, v44
	v_sub_f32_e32 v34, v37, v68
	v_fmac_f32_e32 v42, 0xbf737871, v41
	v_fmac_f32_e32 v44, 0x3f737871, v41
	v_fmac_f32_e32 v42, 0x3f167918, v34
	v_fmac_f32_e32 v44, 0xbf167918, v34
	v_fmac_f32_e32 v42, 0x3e9e377a, v35
	v_fmac_f32_e32 v44, 0x3e9e377a, v35
	v_sub_f32_e32 v35, v39, v25
	v_sub_f32_e32 v43, v81, v47
	v_add_f32_e32 v43, v35, v43
	v_add_f32_e32 v35, v25, v47
	v_fma_f32 v46, -0.5, v35, v75
	v_mov_b32_e32 v35, v46
	v_fmac_f32_e32 v35, 0x3f737871, v34
	v_fmac_f32_e32 v46, 0xbf737871, v34
	v_add_f32_e32 v34, v39, v75
	v_add_f32_e32 v34, v25, v34
	v_add_f32_e32 v34, v47, v34
	v_fmac_f32_e32 v35, 0x3f167918, v41
	v_fmac_f32_e32 v46, 0xbf167918, v41
	v_add_f32_e32 v48, v81, v34
	v_sub_f32_e32 v34, v32, v37
	v_sub_f32_e32 v41, v66, v68
	v_add_f32_e32 v34, v34, v41
	v_add_f32_e32 v41, v37, v68
	v_fmac_f32_e32 v35, 0x3e9e377a, v43
	v_fmac_f32_e32 v46, 0x3e9e377a, v43
	v_fma_f32 v43, -0.5, v41, v13
	v_sub_f32_e32 v25, v25, v47
	v_mov_b32_e32 v41, v43
	v_fmac_f32_e32 v41, 0x3f737871, v25
	v_sub_f32_e32 v39, v39, v81
	v_fmac_f32_e32 v43, 0xbf737871, v25
	v_fmac_f32_e32 v41, 0xbf167918, v39
	;; [unrolled: 1-line block ×5, first 2 shown]
	v_sub_f32_e32 v34, v37, v32
	v_sub_f32_e32 v45, v68, v66
	v_add_f32_e32 v47, v34, v45
	v_add_f32_e32 v34, v32, v66
	v_fma_f32 v45, -0.5, v34, v13
	v_add_f32_e32 v13, v13, v37
	v_lshlrev_b32_e32 v37, 2, v87
	v_mov_b32_e32 v34, v45
	v_lshlrev_b64 v[37:38], 3, v[37:38]
	v_fmac_f32_e32 v34, 0xbf737871, v39
	v_fmac_f32_e32 v45, 0x3f737871, v39
	v_add_f32_e32 v13, v32, v13
	v_fmac_f32_e32 v34, 0xbf167918, v25
	v_fmac_f32_e32 v45, 0x3f167918, v25
	v_add_f32_e32 v13, v13, v66
	v_add_co_u32_e32 v37, vcc, s8, v37
	v_fmac_f32_e32 v34, 0x3e9e377a, v47
	v_fmac_f32_e32 v45, 0x3e9e377a, v47
	v_add_f32_e32 v47, v13, v68
	v_add_u32_e32 v13, 0x600, v56
	v_addc_co_u32_e32 v38, vcc, v57, v38, vcc
	ds_read2_b32 v[75:76], v13 offset0:66 offset1:156
	global_load_dwordx4 v[66:69], v[37:38], off offset:3536
	global_load_dwordx4 v[70:73], v[37:38], off offset:3520
	v_add_u32_e32 v25, 0x1400, v56
	ds_read2_b32 v[37:38], v25 offset0:70 offset1:160
	s_waitcnt vmcnt(2)
	v_mul_f32_e32 v13, v64, v77
	s_waitcnt lgkmcnt(1)
	v_mul_f32_e32 v56, v62, v76
	v_mul_f32_e32 v80, v60, v79
	v_fmac_f32_e32 v13, v31, v65
	s_waitcnt lgkmcnt(0)
	v_mul_f32_e32 v78, v58, v38
	v_fmac_f32_e32 v56, v24, v63
	v_fmac_f32_e32 v78, v20, v59
	;; [unrolled: 1-line block ×3, first 2 shown]
	v_sub_f32_e32 v25, v13, v56
	v_sub_f32_e32 v32, v78, v80
	v_add_f32_e32 v39, v25, v32
	v_mul_f32_e32 v25, v63, v76
	v_fma_f32 v62, v24, v62, -v25
	ds_read_b32 v24, v54
	v_mul_f32_e32 v25, v61, v79
	v_mul_f32_e32 v32, v65, v77
	v_fma_f32 v33, v33, v60, -v25
	v_add_f32_e32 v25, v56, v80
	v_fma_f32 v60, v31, v64, -v32
	v_mul_f32_e32 v31, v59, v38
	s_waitcnt lgkmcnt(0)
	v_fma_f32 v25, -0.5, v25, v24
	v_fma_f32 v20, v20, v58, -v31
	v_sub_f32_e32 v31, v60, v20
	v_mov_b32_e32 v32, v25
	v_sub_f32_e32 v54, v62, v33
	v_fmac_f32_e32 v32, 0xbf737871, v31
	v_fmac_f32_e32 v25, 0x3f737871, v31
	v_fmac_f32_e32 v32, 0x3f167918, v54
	v_fmac_f32_e32 v25, 0xbf167918, v54
	v_fmac_f32_e32 v32, 0x3e9e377a, v39
	v_fmac_f32_e32 v25, 0x3e9e377a, v39
	v_sub_f32_e32 v38, v56, v13
	v_sub_f32_e32 v39, v80, v78
	v_add_f32_e32 v38, v38, v39
	v_add_f32_e32 v39, v13, v78
	v_fma_f32 v39, -0.5, v39, v24
	v_add_f32_e32 v24, v56, v24
	v_mov_b32_e32 v57, v39
	v_add_f32_e32 v24, v13, v24
	v_fmac_f32_e32 v57, 0x3f737871, v54
	v_fmac_f32_e32 v39, 0xbf737871, v54
	v_add_f32_e32 v24, v78, v24
	v_fmac_f32_e32 v57, 0x3f167918, v31
	v_fmac_f32_e32 v39, 0xbf167918, v31
	v_add_f32_e32 v59, v80, v24
	v_sub_f32_e32 v24, v60, v62
	v_sub_f32_e32 v31, v20, v33
	v_fmac_f32_e32 v57, 0x3e9e377a, v38
	v_fmac_f32_e32 v39, 0x3e9e377a, v38
	v_add_f32_e32 v38, v24, v31
	v_add_f32_e32 v24, v62, v33
	v_fma_f32 v24, -0.5, v24, v55
	v_sub_f32_e32 v13, v13, v78
	v_mov_b32_e32 v31, v24
	v_fmac_f32_e32 v31, 0x3f737871, v13
	v_sub_f32_e32 v54, v56, v80
	v_fmac_f32_e32 v24, 0xbf737871, v13
	v_fmac_f32_e32 v31, 0xbf167918, v54
	;; [unrolled: 1-line block ×5, first 2 shown]
	v_sub_f32_e32 v38, v62, v60
	v_sub_f32_e32 v56, v33, v20
	v_add_f32_e32 v58, v38, v56
	v_add_f32_e32 v38, v60, v20
	v_fma_f32 v38, -0.5, v38, v55
	v_mov_b32_e32 v56, v38
	v_fmac_f32_e32 v56, 0xbf737871, v54
	v_fmac_f32_e32 v38, 0x3f737871, v54
	;; [unrolled: 1-line block ×4, first 2 shown]
	v_add_f32_e32 v13, v55, v62
	v_add_f32_e32 v13, v60, v13
	;; [unrolled: 1-line block ×3, first 2 shown]
	v_fmac_f32_e32 v56, 0x3e9e377a, v58
	v_fmac_f32_e32 v38, 0x3e9e377a, v58
	v_add_f32_e32 v58, v13, v33
	s_waitcnt vmcnt(0)
	v_mul_f32_e32 v33, v72, v36
	v_mul_f32_e32 v54, v70, v75
	;; [unrolled: 1-line block ×4, first 2 shown]
	v_fmac_f32_e32 v33, v18, v73
	v_fmac_f32_e32 v54, v23, v71
	;; [unrolled: 1-line block ×4, first 2 shown]
	v_sub_f32_e32 v13, v33, v54
	v_sub_f32_e32 v20, v60, v62
	v_add_f32_e32 v13, v13, v20
	v_mul_f32_e32 v20, v71, v75
	v_fma_f32 v23, v23, v70, -v20
	v_mul_f32_e32 v20, v69, v40
	v_mul_f32_e32 v36, v73, v36
	v_fma_f32 v26, v26, v68, -v20
	v_add_f32_e32 v20, v54, v62
	v_fma_f32 v18, v18, v72, -v36
	v_mul_f32_e32 v36, v67, v37
	v_fma_f32 v20, -0.5, v20, v74
	v_fma_f32 v65, v19, v66, -v36
	v_sub_f32_e32 v19, v18, v65
	v_mov_b32_e32 v37, v20
	v_sub_f32_e32 v40, v23, v26
	v_fmac_f32_e32 v37, 0xbf737871, v19
	v_fmac_f32_e32 v20, 0x3f737871, v19
	;; [unrolled: 1-line block ×6, first 2 shown]
	v_sub_f32_e32 v13, v54, v33
	v_sub_f32_e32 v36, v62, v60
	v_add_f32_e32 v13, v13, v36
	v_add_f32_e32 v36, v33, v60
	v_fma_f32 v55, -0.5, v36, v74
	v_mov_b32_e32 v61, v55
	v_fmac_f32_e32 v61, 0x3f737871, v40
	v_fmac_f32_e32 v55, 0xbf737871, v40
	;; [unrolled: 1-line block ×4, first 2 shown]
	v_sub_f32_e32 v19, v18, v23
	v_sub_f32_e32 v36, v65, v26
	v_fmac_f32_e32 v61, 0x3e9e377a, v13
	v_fmac_f32_e32 v55, 0x3e9e377a, v13
	v_add_f32_e32 v13, v54, v74
	v_add_f32_e32 v40, v19, v36
	;; [unrolled: 1-line block ×4, first 2 shown]
	v_fma_f32 v19, -0.5, v19, v12
	v_add_f32_e32 v13, v60, v13
	v_sub_f32_e32 v33, v33, v60
	v_mov_b32_e32 v36, v19
	v_add_f32_e32 v13, v62, v13
	v_fmac_f32_e32 v36, 0x3f737871, v33
	v_sub_f32_e32 v62, v54, v62
	v_fmac_f32_e32 v19, 0xbf737871, v33
	v_fmac_f32_e32 v36, 0xbf167918, v62
	v_fmac_f32_e32 v19, 0x3f167918, v62
	v_fmac_f32_e32 v36, 0x3e9e377a, v40
	v_fmac_f32_e32 v19, 0x3e9e377a, v40
	v_sub_f32_e32 v40, v23, v18
	v_sub_f32_e32 v54, v26, v65
	v_add_f32_e32 v40, v40, v54
	v_add_f32_e32 v54, v18, v65
	v_fma_f32 v54, -0.5, v54, v12
	v_mov_b32_e32 v60, v54
	v_fmac_f32_e32 v60, 0xbf737871, v62
	v_fmac_f32_e32 v54, 0x3f737871, v62
	v_mad_u64_u32 v[62:63], s[0:1], s12, v87, 0
	v_add_f32_e32 v23, v12, v23
	v_fmac_f32_e32 v54, 0x3f167918, v33
	v_mov_b32_e32 v12, v63
	v_mad_u64_u32 v[63:64], s[0:1], s13, v87, v[12:13]
	v_add_f32_e32 v12, v18, v23
	v_add_f32_e32 v12, v12, v65
	v_mov_b32_e32 v18, s15
	v_add_co_u32_e32 v23, vcc, s14, v0
	v_add_f32_e32 v12, v12, v26
	v_addc_co_u32_e32 v26, vcc, v18, v1, vcc
	v_lshlrev_b64 v[0:1], 3, v[62:63]
	v_mad_u64_u32 v[62:63], s[0:1], s12, v53, 0
	v_add_co_u32_e32 v0, vcc, v23, v0
	v_mov_b32_e32 v18, v63
	v_mad_u64_u32 v[63:64], s[0:1], s13, v53, v[18:19]
	v_add_u32_e32 v18, 0x384, v87
	v_mad_u64_u32 v[64:65], s[0:1], s12, v18, 0
	v_addc_co_u32_e32 v1, vcc, v26, v1, vcc
	global_store_dwordx2 v[0:1], v[12:13], off
	v_mov_b32_e32 v12, v65
	v_mad_u64_u32 v[12:13], s[0:1], s13, v18, v[12:13]
	v_add_u32_e32 v18, 0x546, v87
	v_lshlrev_b64 v[0:1], 3, v[62:63]
	v_mov_b32_e32 v65, v12
	v_mad_u64_u32 v[12:13], s[0:1], s12, v18, 0
	v_add_co_u32_e32 v0, vcc, v23, v0
	v_fmac_f32_e32 v54, 0x3e9e377a, v40
	v_addc_co_u32_e32 v1, vcc, v26, v1, vcc
	global_store_dwordx2 v[0:1], v[54:55], off
	v_mad_u64_u32 v[53:54], s[0:1], s13, v18, v[13:14]
	v_add_u32_e32 v18, 0x708, v87
	v_lshlrev_b64 v[0:1], 3, v[64:65]
	v_mad_u64_u32 v[54:55], s[0:1], s12, v18, 0
	v_add_co_u32_e32 v0, vcc, v23, v0
	v_addc_co_u32_e32 v1, vcc, v26, v1, vcc
	v_mov_b32_e32 v13, v53
	global_store_dwordx2 v[0:1], v[19:20], off
	v_lshlrev_b64 v[0:1], 3, v[12:13]
	v_mov_b32_e32 v12, v55
	v_mad_u64_u32 v[12:13], s[0:1], s13, v18, v[12:13]
	v_add_u32_e32 v18, 0x5a, v87
	v_add_co_u32_e32 v0, vcc, v23, v0
	v_mov_b32_e32 v55, v12
	v_mad_u64_u32 v[12:13], s[2:3], s12, v18, 0
	v_addc_co_u32_e32 v1, vcc, v26, v1, vcc
	v_mad_u64_u32 v[18:19], s[2:3], s13, v18, v[13:14]
	global_store_dwordx2 v[0:1], v[36:37], off
	v_lshlrev_b64 v[0:1], 3, v[54:55]
	v_mad_u64_u32 v[19:20], s[2:3], s12, v52, 0
	v_fmac_f32_e32 v60, 0xbf167918, v33
	v_add_co_u32_e32 v0, vcc, v23, v0
	v_fmac_f32_e32 v60, 0x3e9e377a, v40
	v_addc_co_u32_e32 v1, vcc, v26, v1, vcc
	v_mov_b32_e32 v13, v18
	global_store_dwordx2 v[0:1], v[60:61], off
	v_lshlrev_b64 v[0:1], 3, v[12:13]
	v_mov_b32_e32 v12, v20
	v_mad_u64_u32 v[12:13], s[2:3], s13, v52, v[12:13]
	v_add_u32_e32 v18, 0x3de, v87
	v_add_co_u32_e32 v0, vcc, v23, v0
	v_mov_b32_e32 v20, v12
	v_mad_u64_u32 v[12:13], s[2:3], s12, v18, 0
	v_addc_co_u32_e32 v1, vcc, v26, v1, vcc
	global_store_dwordx2 v[0:1], v[58:59], off
	v_lshlrev_b64 v[0:1], 3, v[19:20]
	v_mad_u64_u32 v[18:19], s[2:3], s13, v18, v[13:14]
	v_add_u32_e32 v33, 0x5a0, v87
	v_mad_u64_u32 v[19:20], s[2:3], s12, v33, 0
	v_add_co_u32_e32 v0, vcc, v23, v0
	v_addc_co_u32_e32 v1, vcc, v26, v1, vcc
	v_mov_b32_e32 v13, v18
	global_store_dwordx2 v[0:1], v[38:39], off
	v_lshlrev_b64 v[0:1], 3, v[12:13]
	v_mov_b32_e32 v12, v20
	v_mad_u64_u32 v[12:13], s[2:3], s13, v33, v[12:13]
	v_add_co_u32_e32 v0, vcc, v23, v0
	v_addc_co_u32_e32 v1, vcc, v26, v1, vcc
	v_mov_b32_e32 v20, v12
	v_add_u32_e32 v18, 0x762, v87
	s_mov_b32 s1, 0x91a2b3c5
	global_store_dwordx2 v[0:1], v[24:25], off
	v_lshlrev_b64 v[0:1], 3, v[19:20]
	v_mad_u64_u32 v[12:13], s[2:3], s12, v18, 0
	v_mul_hi_u32 v20, v49, s1
	s_movk_i32 s0, 0x708
	v_mad_u64_u32 v[18:19], s[2:3], s13, v18, v[13:14]
	v_lshrrev_b32_e32 v13, 8, v20
	v_mad_u32_u24 v24, v13, s0, v49
	v_mad_u64_u32 v[19:20], s[2:3], s12, v24, 0
	v_add_co_u32_e32 v0, vcc, v23, v0
	v_addc_co_u32_e32 v1, vcc, v26, v1, vcc
	v_mov_b32_e32 v13, v18
	global_store_dwordx2 v[0:1], v[31:32], off
	v_lshlrev_b64 v[0:1], 3, v[12:13]
	v_mov_b32_e32 v12, v20
	v_mad_u64_u32 v[12:13], s[2:3], s13, v24, v[12:13]
	v_add_u32_e32 v18, 0x1c2, v24
	v_add_co_u32_e32 v0, vcc, v23, v0
	v_mov_b32_e32 v20, v12
	v_mad_u64_u32 v[12:13], s[2:3], s12, v18, 0
	v_addc_co_u32_e32 v1, vcc, v26, v1, vcc
	global_store_dwordx2 v[0:1], v[56:57], off
	v_lshlrev_b64 v[0:1], 3, v[19:20]
	v_mad_u64_u32 v[18:19], s[2:3], s13, v18, v[13:14]
	v_add_u32_e32 v25, 0x384, v24
	v_mad_u64_u32 v[19:20], s[2:3], s12, v25, 0
	v_add_co_u32_e32 v0, vcc, v23, v0
	v_addc_co_u32_e32 v1, vcc, v26, v1, vcc
	v_mov_b32_e32 v13, v18
	global_store_dwordx2 v[0:1], v[47:48], off
	v_lshlrev_b64 v[0:1], 3, v[12:13]
	v_mov_b32_e32 v12, v20
	v_mad_u64_u32 v[12:13], s[2:3], s13, v25, v[12:13]
	v_add_u32_e32 v18, 0x546, v24
	v_add_co_u32_e32 v0, vcc, v23, v0
	v_mov_b32_e32 v20, v12
	v_mad_u64_u32 v[12:13], s[2:3], s12, v18, 0
	v_addc_co_u32_e32 v1, vcc, v26, v1, vcc
	global_store_dwordx2 v[0:1], v[45:46], off
	v_lshlrev_b64 v[0:1], 3, v[19:20]
	v_mad_u64_u32 v[18:19], s[2:3], s13, v18, v[13:14]
	v_add_u32_e32 v24, 0x708, v24
	v_mad_u64_u32 v[19:20], s[2:3], s12, v24, 0
	v_add_co_u32_e32 v0, vcc, v23, v0
	v_addc_co_u32_e32 v1, vcc, v26, v1, vcc
	v_mov_b32_e32 v13, v18
	global_store_dwordx2 v[0:1], v[43:44], off
	v_lshlrev_b64 v[0:1], 3, v[12:13]
	v_mov_b32_e32 v12, v20
	v_mad_u64_u32 v[12:13], s[2:3], s13, v24, v[12:13]
	v_mul_hi_u32 v13, v51, s1
	v_add_co_u32_e32 v0, vcc, v23, v0
	v_mov_b32_e32 v20, v12
	v_lshrrev_b32_e32 v12, 8, v13
	v_mad_u32_u24 v24, v12, s0, v51
	v_mad_u64_u32 v[12:13], s[2:3], s12, v24, 0
	v_addc_co_u32_e32 v1, vcc, v26, v1, vcc
	global_store_dwordx2 v[0:1], v[41:42], off
	v_lshlrev_b64 v[0:1], 3, v[19:20]
	v_mad_u64_u32 v[18:19], s[2:3], s13, v24, v[13:14]
	v_add_u32_e32 v25, 0x1c2, v24
	v_mad_u64_u32 v[19:20], s[2:3], s12, v25, 0
	v_add_co_u32_e32 v0, vcc, v23, v0
	v_addc_co_u32_e32 v1, vcc, v26, v1, vcc
	v_mov_b32_e32 v13, v18
	global_store_dwordx2 v[0:1], v[34:35], off
	v_lshlrev_b64 v[0:1], 3, v[12:13]
	v_mov_b32_e32 v12, v20
	v_mad_u64_u32 v[12:13], s[2:3], s13, v25, v[12:13]
	v_add_u32_e32 v18, 0x384, v24
	v_add_co_u32_e32 v0, vcc, v23, v0
	v_mov_b32_e32 v20, v12
	v_mad_u64_u32 v[12:13], s[2:3], s12, v18, 0
	v_addc_co_u32_e32 v1, vcc, v26, v1, vcc
	global_store_dwordx2 v[0:1], v[29:30], off
	v_lshlrev_b64 v[0:1], 3, v[19:20]
	v_mad_u64_u32 v[18:19], s[2:3], s13, v18, v[13:14]
	v_add_u32_e32 v25, 0x546, v24
	v_mad_u64_u32 v[19:20], s[2:3], s12, v25, 0
	v_add_co_u32_e32 v0, vcc, v23, v0
	v_addc_co_u32_e32 v1, vcc, v26, v1, vcc
	v_mov_b32_e32 v13, v18
	global_store_dwordx2 v[0:1], v[27:28], off
	v_lshlrev_b64 v[0:1], 3, v[12:13]
	v_mov_b32_e32 v12, v20
	v_mad_u64_u32 v[12:13], s[2:3], s13, v25, v[12:13]
	v_add_co_u32_e32 v0, vcc, v23, v0
	v_addc_co_u32_e32 v1, vcc, v26, v1, vcc
	v_mov_b32_e32 v20, v12
	v_add_u32_e32 v18, 0x708, v24
	global_store_dwordx2 v[0:1], v[21:22], off
	v_lshlrev_b64 v[0:1], 3, v[19:20]
	v_mad_u64_u32 v[12:13], s[2:3], s12, v18, 0
	v_mul_hi_u32 v20, v50, s1
	v_add_co_u32_e32 v0, vcc, v23, v0
	v_mad_u64_u32 v[18:19], s[2:3], s13, v18, v[13:14]
	v_lshrrev_b32_e32 v13, 8, v20
	v_mad_u32_u24 v21, v13, s0, v50
	v_mad_u64_u32 v[19:20], s[0:1], s12, v21, 0
	v_addc_co_u32_e32 v1, vcc, v26, v1, vcc
	v_mov_b32_e32 v13, v18
	global_store_dwordx2 v[0:1], v[14:15], off
	v_lshlrev_b64 v[0:1], 3, v[12:13]
	v_mov_b32_e32 v12, v20
	v_mad_u64_u32 v[12:13], s[0:1], s13, v21, v[12:13]
	v_add_u32_e32 v14, 0x1c2, v21
	v_add_co_u32_e32 v0, vcc, v23, v0
	v_mov_b32_e32 v20, v12
	v_mad_u64_u32 v[12:13], s[0:1], s12, v14, 0
	v_addc_co_u32_e32 v1, vcc, v26, v1, vcc
	global_store_dwordx2 v[0:1], v[16:17], off
	v_mad_u64_u32 v[13:14], s[0:1], s13, v14, v[13:14]
	v_add_u32_e32 v16, 0x384, v21
	v_lshlrev_b64 v[0:1], 3, v[19:20]
	v_mad_u64_u32 v[14:15], s[0:1], s12, v16, 0
	v_add_co_u32_e32 v0, vcc, v23, v0
	v_addc_co_u32_e32 v1, vcc, v26, v1, vcc
	global_store_dwordx2 v[0:1], v[10:11], off
	v_mov_b32_e32 v10, v15
	v_mad_u64_u32 v[10:11], s[0:1], s13, v16, v[10:11]
	v_lshlrev_b64 v[0:1], 3, v[12:13]
	v_add_u32_e32 v12, 0x708, v21
	v_add_co_u32_e32 v0, vcc, v23, v0
	v_addc_co_u32_e32 v1, vcc, v26, v1, vcc
	v_mov_b32_e32 v15, v10
	v_add_u32_e32 v10, 0x546, v21
	global_store_dwordx2 v[0:1], v[8:9], off
	v_mad_u64_u32 v[8:9], s[0:1], s12, v10, 0
	v_lshlrev_b64 v[0:1], 3, v[14:15]
	v_mad_u64_u32 v[9:10], s[0:1], s13, v10, v[9:10]
	v_mad_u64_u32 v[10:11], s[0:1], s12, v12, 0
	v_add_co_u32_e32 v0, vcc, v23, v0
	v_addc_co_u32_e32 v1, vcc, v26, v1, vcc
	global_store_dwordx2 v[0:1], v[6:7], off
	v_mov_b32_e32 v6, v11
	v_mad_u64_u32 v[6:7], s[0:1], s13, v12, v[6:7]
	v_lshlrev_b64 v[0:1], 3, v[8:9]
	v_add_co_u32_e32 v0, vcc, v23, v0
	v_addc_co_u32_e32 v1, vcc, v26, v1, vcc
	v_mov_b32_e32 v11, v6
	global_store_dwordx2 v[0:1], v[4:5], off
	v_lshlrev_b64 v[0:1], 3, v[10:11]
	v_add_co_u32_e32 v0, vcc, v23, v0
	v_addc_co_u32_e32 v1, vcc, v26, v1, vcc
	global_store_dwordx2 v[0:1], v[2:3], off
.LBB0_37:
	s_endpgm
	.section	.rodata,"a",@progbits
	.p2align	6, 0x0
	.amdhsa_kernel fft_rtc_fwd_len2250_factors_10_3_5_3_5_wgs_90_tpt_90_halfLds_sp_ip_CI_sbrr_dirReg
		.amdhsa_group_segment_fixed_size 0
		.amdhsa_private_segment_fixed_size 0
		.amdhsa_kernarg_size 88
		.amdhsa_user_sgpr_count 6
		.amdhsa_user_sgpr_private_segment_buffer 1
		.amdhsa_user_sgpr_dispatch_ptr 0
		.amdhsa_user_sgpr_queue_ptr 0
		.amdhsa_user_sgpr_kernarg_segment_ptr 1
		.amdhsa_user_sgpr_dispatch_id 0
		.amdhsa_user_sgpr_flat_scratch_init 0
		.amdhsa_user_sgpr_private_segment_size 0
		.amdhsa_uses_dynamic_stack 0
		.amdhsa_system_sgpr_private_segment_wavefront_offset 0
		.amdhsa_system_sgpr_workgroup_id_x 1
		.amdhsa_system_sgpr_workgroup_id_y 0
		.amdhsa_system_sgpr_workgroup_id_z 0
		.amdhsa_system_sgpr_workgroup_info 0
		.amdhsa_system_vgpr_workitem_id 0
		.amdhsa_next_free_vgpr 134
		.amdhsa_next_free_sgpr 24
		.amdhsa_reserve_vcc 1
		.amdhsa_reserve_flat_scratch 0
		.amdhsa_float_round_mode_32 0
		.amdhsa_float_round_mode_16_64 0
		.amdhsa_float_denorm_mode_32 3
		.amdhsa_float_denorm_mode_16_64 3
		.amdhsa_dx10_clamp 1
		.amdhsa_ieee_mode 1
		.amdhsa_fp16_overflow 0
		.amdhsa_exception_fp_ieee_invalid_op 0
		.amdhsa_exception_fp_denorm_src 0
		.amdhsa_exception_fp_ieee_div_zero 0
		.amdhsa_exception_fp_ieee_overflow 0
		.amdhsa_exception_fp_ieee_underflow 0
		.amdhsa_exception_fp_ieee_inexact 0
		.amdhsa_exception_int_div_zero 0
	.end_amdhsa_kernel
	.text
.Lfunc_end0:
	.size	fft_rtc_fwd_len2250_factors_10_3_5_3_5_wgs_90_tpt_90_halfLds_sp_ip_CI_sbrr_dirReg, .Lfunc_end0-fft_rtc_fwd_len2250_factors_10_3_5_3_5_wgs_90_tpt_90_halfLds_sp_ip_CI_sbrr_dirReg
                                        ; -- End function
	.section	.AMDGPU.csdata,"",@progbits
; Kernel info:
; codeLenInByte = 18248
; NumSgprs: 28
; NumVgprs: 134
; ScratchSize: 0
; MemoryBound: 0
; FloatMode: 240
; IeeeMode: 1
; LDSByteSize: 0 bytes/workgroup (compile time only)
; SGPRBlocks: 3
; VGPRBlocks: 33
; NumSGPRsForWavesPerEU: 28
; NumVGPRsForWavesPerEU: 134
; Occupancy: 1
; WaveLimiterHint : 1
; COMPUTE_PGM_RSRC2:SCRATCH_EN: 0
; COMPUTE_PGM_RSRC2:USER_SGPR: 6
; COMPUTE_PGM_RSRC2:TRAP_HANDLER: 0
; COMPUTE_PGM_RSRC2:TGID_X_EN: 1
; COMPUTE_PGM_RSRC2:TGID_Y_EN: 0
; COMPUTE_PGM_RSRC2:TGID_Z_EN: 0
; COMPUTE_PGM_RSRC2:TIDIG_COMP_CNT: 0
	.type	__hip_cuid_a7a6f72f7a5023c7,@object ; @__hip_cuid_a7a6f72f7a5023c7
	.section	.bss,"aw",@nobits
	.globl	__hip_cuid_a7a6f72f7a5023c7
__hip_cuid_a7a6f72f7a5023c7:
	.byte	0                               ; 0x0
	.size	__hip_cuid_a7a6f72f7a5023c7, 1

	.ident	"AMD clang version 19.0.0git (https://github.com/RadeonOpenCompute/llvm-project roc-6.4.0 25133 c7fe45cf4b819c5991fe208aaa96edf142730f1d)"
	.section	".note.GNU-stack","",@progbits
	.addrsig
	.addrsig_sym __hip_cuid_a7a6f72f7a5023c7
	.amdgpu_metadata
---
amdhsa.kernels:
  - .args:
      - .actual_access:  read_only
        .address_space:  global
        .offset:         0
        .size:           8
        .value_kind:     global_buffer
      - .offset:         8
        .size:           8
        .value_kind:     by_value
      - .actual_access:  read_only
        .address_space:  global
        .offset:         16
        .size:           8
        .value_kind:     global_buffer
      - .actual_access:  read_only
        .address_space:  global
        .offset:         24
        .size:           8
        .value_kind:     global_buffer
      - .offset:         32
        .size:           8
        .value_kind:     by_value
      - .actual_access:  read_only
        .address_space:  global
        .offset:         40
        .size:           8
        .value_kind:     global_buffer
      - .actual_access:  read_only
        .address_space:  global
        .offset:         48
        .size:           8
        .value_kind:     global_buffer
      - .offset:         56
        .size:           4
        .value_kind:     by_value
      - .actual_access:  read_only
        .address_space:  global
        .offset:         64
        .size:           8
        .value_kind:     global_buffer
      - .actual_access:  read_only
        .address_space:  global
        .offset:         72
        .size:           8
        .value_kind:     global_buffer
      - .address_space:  global
        .offset:         80
        .size:           8
        .value_kind:     global_buffer
    .group_segment_fixed_size: 0
    .kernarg_segment_align: 8
    .kernarg_segment_size: 88
    .language:       OpenCL C
    .language_version:
      - 2
      - 0
    .max_flat_workgroup_size: 90
    .name:           fft_rtc_fwd_len2250_factors_10_3_5_3_5_wgs_90_tpt_90_halfLds_sp_ip_CI_sbrr_dirReg
    .private_segment_fixed_size: 0
    .sgpr_count:     28
    .sgpr_spill_count: 0
    .symbol:         fft_rtc_fwd_len2250_factors_10_3_5_3_5_wgs_90_tpt_90_halfLds_sp_ip_CI_sbrr_dirReg.kd
    .uniform_work_group_size: 1
    .uses_dynamic_stack: false
    .vgpr_count:     134
    .vgpr_spill_count: 0
    .wavefront_size: 64
amdhsa.target:   amdgcn-amd-amdhsa--gfx906
amdhsa.version:
  - 1
  - 2
...

	.end_amdgpu_metadata
